;; amdgpu-corpus repo=ROCm/rocFFT kind=compiled arch=gfx906 opt=O3
	.text
	.amdgcn_target "amdgcn-amd-amdhsa--gfx906"
	.amdhsa_code_object_version 6
	.protected	bluestein_single_back_len1224_dim1_dp_op_CI_CI ; -- Begin function bluestein_single_back_len1224_dim1_dp_op_CI_CI
	.globl	bluestein_single_back_len1224_dim1_dp_op_CI_CI
	.p2align	8
	.type	bluestein_single_back_len1224_dim1_dp_op_CI_CI,@function
bluestein_single_back_len1224_dim1_dp_op_CI_CI: ; @bluestein_single_back_len1224_dim1_dp_op_CI_CI
; %bb.0:
	s_mov_b64 s[62:63], s[2:3]
	v_mul_u32_u24_e32 v1, 0x283, v0
	s_mov_b64 s[60:61], s[0:1]
	v_lshrrev_b32_e32 v1, 16, v1
	s_add_u32 s60, s60, s7
	v_lshl_add_u32 v3, s6, 1, v1
	s_addc_u32 s61, s61, 0
	v_mov_b32_e32 v2, v3
	buffer_store_dword v2, off, s[60:63], 0 ; 4-byte Folded Spill
	s_nop 0
	buffer_store_dword v3, off, s[60:63], 0 offset:4 ; 4-byte Folded Spill
	s_load_dwordx4 s[0:3], s[4:5], 0x28
	v_mov_b32_e32 v4, 0
	s_waitcnt lgkmcnt(0)
	v_cmp_gt_u64_e32 vcc, s[0:1], v[3:4]
	s_and_saveexec_b64 s[0:1], vcc
	s_cbranch_execz .LBB0_15
; %bb.1:
	s_load_dwordx2 s[12:13], s[4:5], 0x0
	s_load_dwordx2 s[14:15], s[4:5], 0x38
	v_mul_lo_u16_e32 v2, 0x66, v1
	v_sub_u16_e32 v184, v0, v2
	v_and_b32_e32 v0, 1, v1
	v_mov_b32_e32 v1, 0x4c8
	v_cmp_eq_u32_e32 vcc, 1, v0
	v_cndmask_b32_e32 v212, 0, v1, vcc
	s_movk_i32 s0, 0x48
	v_cmp_gt_u16_e32 vcc, s0, v184
	v_lshlrev_b32_e32 v0, 4, v184
	v_lshlrev_b32_e32 v185, 4, v212
	buffer_store_dword v0, off, s[60:63], 0 offset:56 ; 4-byte Folded Spill
	s_and_saveexec_b64 s[6:7], vcc
	s_cbranch_execz .LBB0_3
; %bb.2:
	s_load_dwordx2 s[0:1], s[4:5], 0x18
	v_lshlrev_b32_e32 v140, 4, v184
	s_waitcnt lgkmcnt(0)
	v_mov_b32_e32 v24, s13
	v_or_b32_e32 v132, 0x480, v184
	v_lshlrev_b32_e32 v46, 4, v132
	s_load_dwordx4 s[8:11], s[0:1], 0x0
	buffer_load_dword v0, off, s[60:63], 0  ; 4-byte Folded Reload
	buffer_load_dword v1, off, s[60:63], 0 offset:4 ; 4-byte Folded Reload
	s_waitcnt lgkmcnt(0)
	v_mad_u64_u32 v[2:3], s[0:1], s8, v184, 0
	s_waitcnt vmcnt(1)
	v_mov_b32_e32 v4, v0
	s_waitcnt vmcnt(0)
	v_mad_u64_u32 v[0:1], s[0:1], s10, v4, 0
	v_mad_u64_u32 v[4:5], s[0:1], s11, v4, v[1:2]
	;; [unrolled: 1-line block ×3, first 2 shown]
	v_mov_b32_e32 v1, v4
	v_lshlrev_b64 v[0:1], 4, v[0:1]
	v_mov_b32_e32 v3, v5
	v_mov_b32_e32 v6, s3
	v_lshlrev_b64 v[2:3], 4, v[2:3]
	v_add_co_u32_e64 v22, s[0:1], s2, v0
	v_addc_co_u32_e64 v23, s[0:1], v6, v1, s[0:1]
	v_add_co_u32_e64 v20, s[0:1], v22, v2
	v_addc_co_u32_e64 v21, s[0:1], v23, v3, s[0:1]
	v_add_co_u32_e64 v133, s[0:1], s12, v140
	s_movk_i32 s2, 0x1000
	s_movk_i32 s3, 0x2000
	v_addc_co_u32_e64 v134, s[0:1], 0, v24, s[0:1]
	v_add_co_u32_e64 v44, s[0:1], s2, v133
	v_add_co_u32_e64 v96, s[2:3], s3, v133
	v_addc_co_u32_e64 v45, s[0:1], 0, v134, s[0:1]
	v_addc_co_u32_e64 v97, s[0:1], 0, v134, s[2:3]
	s_mul_i32 s0, s9, 0x480
	s_mul_hi_u32 s1, s8, 0x480
	s_mul_i32 s2, s8, 0x480
	s_add_i32 s3, s1, s0
	global_load_dwordx4 v[0:3], v140, s[12:13]
	global_load_dwordx4 v[4:7], v[20:21], off
	global_load_dwordx4 v[8:11], v140, s[12:13] offset:1152
	global_load_dwordx4 v[12:15], v140, s[12:13] offset:2304
	;; [unrolled: 1-line block ×3, first 2 shown]
	global_load_dwordx4 v[24:27], v46, s[12:13]
	global_load_dwordx4 v[28:31], v[44:45], off offset:512
	global_load_dwordx4 v[32:35], v[44:45], off offset:1664
	;; [unrolled: 1-line block ×4, first 2 shown]
	v_mov_b32_e32 v44, s3
	v_add_co_u32_e64 v20, s[0:1], s2, v20
	v_addc_co_u32_e64 v21, s[0:1], v21, v44, s[0:1]
	v_mov_b32_e32 v49, s3
	v_add_co_u32_e64 v48, s[0:1], s2, v20
	v_addc_co_u32_e64 v49, s[0:1], v21, v49, s[0:1]
	v_mov_b32_e32 v50, s3
	global_load_dwordx4 v[44:47], v[20:21], off
	v_add_co_u32_e64 v20, s[0:1], s2, v48
	v_addc_co_u32_e64 v21, s[0:1], v49, v50, s[0:1]
	v_mov_b32_e32 v56, s3
	v_add_co_u32_e64 v59, s[0:1], s2, v20
	v_addc_co_u32_e64 v60, s[0:1], v21, v56, s[0:1]
	v_mov_b32_e32 v61, s3
	global_load_dwordx4 v[48:51], v[48:49], off
	v_mov_b32_e32 v64, s3
	global_load_dwordx4 v[52:55], v[20:21], off
	v_add_co_u32_e64 v20, s[0:1], s2, v59
	v_addc_co_u32_e64 v21, s[0:1], v60, v61, s[0:1]
	v_add_co_u32_e64 v67, s[0:1], s2, v20
	v_addc_co_u32_e64 v68, s[0:1], v21, v64, s[0:1]
	v_mov_b32_e32 v69, s3
	global_load_dwordx4 v[56:59], v[59:60], off
	v_mov_b32_e32 v72, s3
	global_load_dwordx4 v[60:63], v[20:21], off
	v_add_co_u32_e64 v20, s[0:1], s2, v67
	v_addc_co_u32_e64 v21, s[0:1], v68, v69, s[0:1]
	;; [unrolled: 8-line block ×3, first 2 shown]
	global_load_dwordx4 v[72:75], v[76:77], off
	s_nop 0
	global_load_dwordx4 v[76:79], v[20:21], off
	global_load_dwordx4 v[80:83], v[96:97], off offset:1024
	global_load_dwordx4 v[84:87], v[96:97], off offset:2176
	v_add_co_u32_e64 v20, s[0:1], s2, v20
	v_addc_co_u32_e64 v21, s[0:1], v21, v88, s[0:1]
	global_load_dwordx4 v[88:91], v[20:21], off
	global_load_dwordx4 v[92:95], v[96:97], off offset:3328
	v_mov_b32_e32 v96, s3
	v_add_co_u32_e64 v20, s[0:1], s2, v20
	v_addc_co_u32_e64 v21, s[0:1], v21, v96, s[0:1]
	s_movk_i32 s0, 0x3000
	v_add_co_u32_e64 v124, s[0:1], s0, v133
	v_addc_co_u32_e64 v125, s[0:1], 0, v134, s[0:1]
	global_load_dwordx4 v[96:99], v[20:21], off
	v_mov_b32_e32 v100, s3
	v_add_co_u32_e64 v20, s[0:1], s2, v20
	v_addc_co_u32_e64 v21, s[0:1], v21, v100, s[0:1]
	global_load_dwordx4 v[100:103], v[20:21], off
	global_load_dwordx4 v[104:107], v[124:125], off offset:384
	global_load_dwordx4 v[108:111], v[124:125], off offset:1536
	v_mov_b32_e32 v112, s3
	v_add_co_u32_e64 v20, s[0:1], s2, v20
	v_addc_co_u32_e64 v21, s[0:1], v21, v112, s[0:1]
	global_load_dwordx4 v[112:115], v[20:21], off
	v_mov_b32_e32 v116, s3
	v_add_co_u32_e64 v20, s[0:1], s2, v20
	v_addc_co_u32_e64 v21, s[0:1], v21, v116, s[0:1]
	v_mad_u64_u32 v[138:139], s[0:1], s8, v132, 0
	global_load_dwordx4 v[116:119], v[20:21], off
	global_load_dwordx4 v[120:123], v[124:125], off offset:2688
	s_nop 0
	global_load_dwordx4 v[124:127], v[124:125], off offset:3840
	v_mov_b32_e32 v128, s3
	v_add_co_u32_e64 v20, s[0:1], s2, v20
	v_addc_co_u32_e64 v21, s[0:1], v21, v128, s[0:1]
	global_load_dwordx4 v[128:131], v[20:21], off
	v_mov_b32_e32 v20, v139
	v_mad_u64_u32 v[20:21], s[0:1], s9, v132, v[20:21]
	s_movk_i32 s2, 0x4000
	v_add_co_u32_e64 v132, s[0:1], s2, v133
	v_mov_b32_e32 v139, v20
	v_lshlrev_b64 v[20:21], 4, v[138:139]
	v_addc_co_u32_e64 v133, s[0:1], 0, v134, s[0:1]
	v_add_co_u32_e64 v20, s[0:1], v22, v20
	global_load_dwordx4 v[132:135], v[132:133], off offset:896
	v_addc_co_u32_e64 v21, s[0:1], v23, v21, s[0:1]
	global_load_dwordx4 v[20:23], v[20:21], off
	s_waitcnt vmcnt(32)
	v_mul_f64 v[136:137], v[6:7], v[2:3]
	v_mul_f64 v[138:139], v[4:5], v[2:3]
	v_fma_f64 v[2:3], v[4:5], v[0:1], v[136:137]
	v_fma_f64 v[4:5], v[6:7], v[0:1], -v[138:139]
	v_lshl_add_u32 v6, v184, 4, v185
	s_waitcnt vmcnt(23)
	v_mul_f64 v[0:1], v[46:47], v[10:11]
	v_add_u32_e32 v136, v185, v140
	ds_write_b128 v6, v[2:5]
	v_mul_f64 v[2:3], v[44:45], v[10:11]
	s_waitcnt vmcnt(22)
	v_mul_f64 v[4:5], v[50:51], v[14:15]
	v_mul_f64 v[6:7], v[48:49], v[14:15]
	s_waitcnt vmcnt(21)
	v_mul_f64 v[10:11], v[54:55], v[18:19]
	v_mul_f64 v[14:15], v[52:53], v[18:19]
	s_waitcnt vmcnt(20)
	v_mul_f64 v[18:19], v[58:59], v[30:31]
	v_mul_f64 v[30:31], v[56:57], v[30:31]
	v_fma_f64 v[0:1], v[44:45], v[8:9], v[0:1]
	v_fma_f64 v[2:3], v[46:47], v[8:9], -v[2:3]
	v_fma_f64 v[4:5], v[48:49], v[12:13], v[4:5]
	v_fma_f64 v[6:7], v[50:51], v[12:13], -v[6:7]
	;; [unrolled: 2-line block ×3, first 2 shown]
	v_fma_f64 v[12:13], v[56:57], v[28:29], v[18:19]
	s_waitcnt vmcnt(19)
	v_mul_f64 v[16:17], v[62:63], v[34:35]
	v_mul_f64 v[18:19], v[60:61], v[34:35]
	v_fma_f64 v[14:15], v[58:59], v[28:29], -v[30:31]
	s_waitcnt vmcnt(18)
	v_mul_f64 v[28:29], v[66:67], v[38:39]
	v_mul_f64 v[30:31], v[64:65], v[38:39]
	s_waitcnt vmcnt(17)
	v_mul_f64 v[34:35], v[70:71], v[42:43]
	v_mul_f64 v[38:39], v[68:69], v[42:43]
	;; [unrolled: 3-line block ×3, first 2 shown]
	v_fma_f64 v[16:17], v[60:61], v[32:33], v[16:17]
	v_fma_f64 v[18:19], v[62:63], v[32:33], -v[18:19]
	v_fma_f64 v[28:29], v[64:65], v[36:37], v[28:29]
	v_fma_f64 v[30:31], v[66:67], v[36:37], -v[30:31]
	;; [unrolled: 2-line block ×4, first 2 shown]
	ds_write_b128 v136, v[0:3] offset:1152
	ds_write_b128 v136, v[4:7] offset:2304
	;; [unrolled: 1-line block ×8, first 2 shown]
	s_waitcnt vmcnt(13)
	v_mul_f64 v[0:1], v[78:79], v[86:87]
	v_mul_f64 v[2:3], v[76:77], v[86:87]
	s_waitcnt vmcnt(11)
	v_mul_f64 v[4:5], v[90:91], v[94:95]
	v_mul_f64 v[6:7], v[88:89], v[94:95]
	;; [unrolled: 3-line block ×6, first 2 shown]
	v_fma_f64 v[0:1], v[76:77], v[84:85], v[0:1]
	v_fma_f64 v[2:3], v[78:79], v[84:85], -v[2:3]
	v_fma_f64 v[4:5], v[88:89], v[92:93], v[4:5]
	v_fma_f64 v[6:7], v[90:91], v[92:93], -v[6:7]
	v_fma_f64 v[8:9], v[96:97], v[104:105], v[8:9]
	v_fma_f64 v[10:11], v[98:99], v[104:105], -v[10:11]
	v_fma_f64 v[12:13], v[100:101], v[108:109], v[12:13]
	v_fma_f64 v[14:15], v[102:103], v[108:109], -v[14:15]
	v_fma_f64 v[16:17], v[112:113], v[120:121], v[16:17]
	v_fma_f64 v[18:19], v[114:115], v[120:121], -v[18:19]
	s_waitcnt vmcnt(1)
	v_mul_f64 v[32:33], v[130:131], v[134:135]
	v_mul_f64 v[34:35], v[128:129], v[134:135]
	s_waitcnt vmcnt(0)
	v_mul_f64 v[36:37], v[22:23], v[26:27]
	v_mul_f64 v[38:39], v[20:21], v[26:27]
	v_fma_f64 v[26:27], v[116:117], v[124:125], v[28:29]
	v_fma_f64 v[28:29], v[118:119], v[124:125], -v[30:31]
	v_fma_f64 v[30:31], v[128:129], v[132:133], v[32:33]
	v_fma_f64 v[32:33], v[130:131], v[132:133], -v[34:35]
	;; [unrolled: 2-line block ×3, first 2 shown]
	ds_write_b128 v136, v[0:3] offset:10368
	ds_write_b128 v136, v[4:7] offset:11520
	;; [unrolled: 1-line block ×8, first 2 shown]
.LBB0_3:
	s_or_b64 exec, exec, s[6:7]
	s_load_dwordx2 s[0:1], s[4:5], 0x20
	s_load_dwordx2 s[2:3], s[4:5], 0x8
	s_waitcnt vmcnt(0) lgkmcnt(0)
	s_barrier
	s_waitcnt lgkmcnt(0)
                                        ; implicit-def: $vgpr20_vgpr21
                                        ; implicit-def: $vgpr76_vgpr77
                                        ; implicit-def: $vgpr72_vgpr73
                                        ; implicit-def: $vgpr24_vgpr25
                                        ; implicit-def: $vgpr28_vgpr29
                                        ; implicit-def: $vgpr32_vgpr33
                                        ; implicit-def: $vgpr36_vgpr37
                                        ; implicit-def: $vgpr48_vgpr49
                                        ; implicit-def: $vgpr52_vgpr53
                                        ; implicit-def: $vgpr56_vgpr57
                                        ; implicit-def: $vgpr60_vgpr61
                                        ; implicit-def: $vgpr44_vgpr45
                                        ; implicit-def: $vgpr40_vgpr41
                                        ; implicit-def: $vgpr64_vgpr65
                                        ; implicit-def: $vgpr68_vgpr69
                                        ; implicit-def: $vgpr84_vgpr85
                                        ; implicit-def: $vgpr80_vgpr81
	s_and_saveexec_b64 s[4:5], vcc
	s_cbranch_execz .LBB0_5
; %bb.4:
	v_lshlrev_b32_e32 v0, 4, v184
	v_lshl_add_u32 v0, v212, 4, v0
	ds_read_b128 v[20:23], v0
	ds_read_b128 v[80:83], v0 offset:1152
	ds_read_b128 v[84:87], v0 offset:2304
	;; [unrolled: 1-line block ×16, first 2 shown]
.LBB0_5:
	s_or_b64 exec, exec, s[4:5]
	s_waitcnt lgkmcnt(0)
	v_add_f64 v[215:216], v[82:83], -v[62:63]
	v_add_f64 v[196:197], v[80:81], -v[60:61]
	s_mov_b32 s24, 0x5d8e7cdc
	s_mov_b32 s25, 0xbfd71e95
	v_add_f64 v[102:103], v[60:61], v[80:81]
	v_add_f64 v[104:105], v[62:63], v[82:83]
	v_add_f64 v[233:234], v[86:87], -v[58:59]
	v_add_f64 v[225:226], v[84:85], -v[56:57]
	v_mul_f64 v[94:95], v[215:216], s[24:25]
	v_mul_f64 v[170:171], v[196:197], s[24:25]
	s_mov_b32 s4, 0x370991
	s_mov_b32 s26, 0x2a9d6da3
	;; [unrolled: 1-line block ×4, first 2 shown]
	v_add_f64 v[122:123], v[56:57], v[84:85]
	v_add_f64 v[126:127], v[58:59], v[86:87]
	v_fma_f64 v[0:1], v[102:103], s[4:5], v[94:95]
	v_fma_f64 v[2:3], v[104:105], s[4:5], -v[170:171]
	v_mul_f64 v[180:181], v[233:234], s[26:27]
	v_mul_f64 v[182:183], v[225:226], s[26:27]
	s_mov_b32 s30, 0x7c9e640b
	s_mov_b32 s10, 0x75d4884
	;; [unrolled: 1-line block ×6, first 2 shown]
	v_mul_f64 v[8:9], v[215:216], s[30:31]
	v_mul_f64 v[10:11], v[196:197], s[30:31]
	v_add_f64 v[0:1], v[20:21], v[0:1]
	v_add_f64 v[2:3], v[22:23], v[2:3]
	v_mul_f64 v[16:17], v[233:234], s[36:37]
	v_mul_f64 v[18:19], v[225:226], s[36:37]
	v_fma_f64 v[12:13], v[122:123], s[10:11], v[180:181]
	v_fma_f64 v[14:15], v[126:127], s[10:11], -v[182:183]
	v_add_f64 v[237:238], v[78:79], -v[54:55]
	v_add_f64 v[235:236], v[76:77], -v[52:53]
	s_mov_b32 s34, 0x6c9a05f6
	s_mov_b32 s35, 0xbfe9895b
	buffer_store_dword v8, off, s[60:63], 0 offset:92 ; 4-byte Folded Spill
	s_nop 0
	buffer_store_dword v9, off, s[60:63], 0 offset:96 ; 4-byte Folded Spill
	buffer_store_dword v10, off, s[60:63], 0 offset:108 ; 4-byte Folded Spill
	s_nop 0
	buffer_store_dword v11, off, s[60:63], 0 offset:112 ; 4-byte Folded Spill
	v_mul_f64 v[88:89], v[233:234], s[34:35]
	v_mul_f64 v[90:91], v[225:226], s[34:35]
	buffer_store_dword v16, off, s[60:63], 0 offset:76 ; 4-byte Folded Spill
	s_nop 0
	buffer_store_dword v17, off, s[60:63], 0 offset:80 ; 4-byte Folded Spill
	buffer_store_dword v18, off, s[60:63], 0 offset:124 ; 4-byte Folded Spill
	s_nop 0
	buffer_store_dword v19, off, s[60:63], 0 offset:128 ; 4-byte Folded Spill
	v_add_f64 v[0:1], v[12:13], v[0:1]
	v_add_f64 v[2:3], v[14:15], v[2:3]
	v_mul_f64 v[12:13], v[237:238], s[30:31]
	v_mul_f64 v[14:15], v[235:236], s[30:31]
	buffer_store_dword v88, off, s[60:63], 0 offset:180 ; 4-byte Folded Spill
	s_nop 0
	buffer_store_dword v89, off, s[60:63], 0 offset:184 ; 4-byte Folded Spill
	buffer_store_dword v90, off, s[60:63], 0 offset:204 ; 4-byte Folded Spill
	s_nop 0
	buffer_store_dword v91, off, s[60:63], 0 offset:208 ; 4-byte Folded Spill
	;; [unrolled: 3-line block ×4, first 2 shown]
	v_mul_f64 v[176:177], v[215:216], s[26:27]
	v_mul_f64 v[178:179], v[196:197], s[26:27]
	s_mov_b32 s6, 0x2b2883cd
	s_mov_b32 s8, 0x3259b75e
	;; [unrolled: 1-line block ×4, first 2 shown]
	v_add_f64 v[144:145], v[78:79], v[54:55]
	s_mov_b32 s18, 0x6ed5f1bb
	v_fma_f64 v[4:5], v[102:103], s[10:11], v[176:177]
	v_fma_f64 v[6:7], v[104:105], s[10:11], -v[178:179]
	s_mov_b32 s19, 0xbfe348c8
	v_add_f64 v[106:107], v[74:75], -v[50:51]
	s_mov_b32 s38, 0xacd6c6b4
	s_mov_b32 s39, 0xbfc7851a
	;; [unrolled: 1-line block ×4, first 2 shown]
	v_add_f64 v[4:5], v[20:21], v[4:5]
	v_add_f64 v[6:7], v[22:23], v[6:7]
	v_add_f64 v[142:143], v[76:77], v[52:53]
	v_add_f64 v[156:157], v[72:73], v[48:49]
	v_add_f64 v[239:240], v[72:73], -v[48:49]
	s_mov_b32 s22, 0x7faef3
	s_mov_b32 s23, 0xbfef7484
	;; [unrolled: 1-line block ×6, first 2 shown]
	v_add_f64 v[160:161], v[74:75], v[50:51]
	v_add_f64 v[188:189], v[70:71], -v[38:39]
	v_add_f64 v[100:101], v[68:69], -v[36:37]
	s_mov_b32 s16, 0xc61f0d01
	s_mov_b32 s46, 0x4363dd80
	;; [unrolled: 1-line block ×4, first 2 shown]
	v_add_f64 v[172:173], v[36:37], v[68:69]
	s_mov_b32 s20, 0x910ea3b9
	v_mul_f64 v[92:93], v[188:189], s[40:41]
	v_mul_f64 v[98:99], v[100:101], s[40:41]
	s_mov_b32 s21, 0xbfeb34fa
	s_mov_b32 s49, 0x3fe58eea
	;; [unrolled: 1-line block ×3, first 2 shown]
	v_add_f64 v[174:175], v[38:39], v[70:71]
	v_add_f64 v[148:149], v[66:67], -v[34:35]
	v_add_f64 v[186:187], v[64:65], -v[32:33]
	v_add_f64 v[192:193], v[32:33], v[64:65]
	v_add_f64 v[194:195], v[34:35], v[66:67]
	v_add_f64 v[164:165], v[26:27], -v[46:47]
	v_add_f64 v[140:141], v[24:25], -v[44:45]
	s_mov_b32 s53, 0xbfe0d888
	s_mov_b32 s52, s46
	v_add_f64 v[206:207], v[24:25], v[44:45]
	v_add_f64 v[210:211], v[26:27], v[46:47]
	s_mov_b32 s55, 0x3feca52d
	s_mov_b32 s54, s30
	v_mul_f64 v[208:209], v[186:187], s[24:25]
	v_add_f64 v[168:169], v[30:31], -v[42:43]
	v_add_f64 v[166:167], v[28:29], -v[40:41]
	v_mul_f64 v[96:97], v[215:216], s[36:37]
	v_mul_f64 v[219:220], v[140:141], s[54:55]
	s_mov_b32 s51, 0x3fd71e95
	s_mov_b32 s50, s24
	v_fma_f64 v[8:9], v[102:103], s[6:7], v[8:9]
	v_fma_f64 v[10:11], v[104:105], s[6:7], -v[10:11]
	v_mul_f64 v[231:232], v[140:141], s[36:37]
	v_add_f64 v[223:224], v[30:31], v[42:43]
	v_fma_f64 v[16:17], v[122:123], s[8:9], v[16:17]
	v_fma_f64 v[18:19], v[126:127], s[8:9], -v[18:19]
	v_mul_f64 v[213:214], v[166:167], s[50:51]
	v_add_f64 v[221:222], v[28:29], v[40:41]
	v_add_f64 v[8:9], v[20:21], v[8:9]
	;; [unrolled: 1-line block ×3, first 2 shown]
	v_fma_f64 v[88:89], v[122:123], s[18:19], v[88:89]
	v_fma_f64 v[90:91], v[126:127], s[18:19], -v[90:91]
	v_add_f64 v[4:5], v[16:17], v[4:5]
	v_add_f64 v[6:7], v[18:19], v[6:7]
	v_mul_f64 v[16:17], v[237:238], s[34:35]
	v_mul_f64 v[18:19], v[235:236], s[34:35]
	buffer_store_dword v16, off, s[60:63], 0 offset:164 ; 4-byte Folded Spill
	s_nop 0
	buffer_store_dword v17, off, s[60:63], 0 offset:168 ; 4-byte Folded Spill
	v_fma_f64 v[14:15], v[144:145], s[6:7], -v[14:15]
	v_add_f64 v[8:9], v[88:89], v[8:9]
	v_add_f64 v[10:11], v[90:91], v[10:11]
	v_mul_f64 v[88:89], v[237:238], s[44:45]
	v_mul_f64 v[90:91], v[235:236], s[44:45]
	buffer_store_dword v18, off, s[60:63], 0 offset:252 ; 4-byte Folded Spill
	s_nop 0
	buffer_store_dword v19, off, s[60:63], 0 offset:256 ; 4-byte Folded Spill
	buffer_store_dword v88, off, s[60:63], 0 offset:268 ; 4-byte Folded Spill
	s_nop 0
	buffer_store_dword v89, off, s[60:63], 0 offset:272 ; 4-byte Folded Spill
	v_add_f64 v[2:3], v[14:15], v[2:3]
	v_mul_f64 v[14:15], v[106:107], s[36:37]
	buffer_store_dword v90, off, s[60:63], 0 offset:324 ; 4-byte Folded Spill
	s_nop 0
	buffer_store_dword v91, off, s[60:63], 0 offset:328 ; 4-byte Folded Spill
	buffer_store_dword v14, off, s[60:63], 0 offset:188 ; 4-byte Folded Spill
	s_nop 0
	buffer_store_dword v15, off, s[60:63], 0 offset:192 ; 4-byte Folded Spill
	v_fma_f64 v[12:13], v[142:143], s[6:7], v[12:13]
	v_mul_f64 v[217:218], v[168:169], s[50:51]
	v_mul_f64 v[229:230], v[166:167], s[52:53]
	;; [unrolled: 1-line block ×7, first 2 shown]
	v_add_f64 v[0:1], v[12:13], v[0:1]
	v_mul_f64 v[245:246], v[106:107], s[50:51]
	v_mul_f64 v[108:109], v[239:240], s[50:51]
	;; [unrolled: 1-line block ×5, first 2 shown]
	s_mov_b32 s59, 0x3fe9895b
	s_mov_b32 s58, s34
	v_mul_f64 v[251:252], v[164:165], s[58:59]
	v_mul_f64 v[116:117], v[140:141], s[58:59]
	v_mul_f64 v[247:248], v[168:169], s[48:49]
	v_mul_f64 v[118:119], v[166:167], s[48:49]
	v_mul_f64 v[120:121], v[215:216], s[40:41]
	v_mul_f64 v[124:125], v[233:234], s[46:47]
	v_mul_f64 v[136:137], v[196:197], s[40:41]
	v_mul_f64 v[138:139], v[225:226], s[46:47]
	v_mul_f64 v[150:151], v[235:236], s[48:49]
	v_mul_f64 v[146:147], v[239:240], s[30:31]
	v_mul_f64 v[128:129], v[188:189], s[38:39]
	v_mul_f64 v[152:153], v[100:101], s[38:39]
	s_mov_b32 s57, 0x3fefdd0d
	s_mov_b32 s56, s36
	v_mul_f64 v[130:131], v[148:149], s[56:57]
	v_mul_f64 v[154:155], v[186:187], s[56:57]
	;; [unrolled: 1-line block ×6, first 2 shown]
	v_fma_f64 v[16:17], v[142:143], s[18:19], v[16:17]
	v_fma_f64 v[12:13], v[144:145], s[18:19], -v[18:19]
	v_add_f64 v[4:5], v[16:17], v[4:5]
	v_mul_f64 v[16:17], v[106:107], s[38:39]
	v_fma_f64 v[18:19], v[142:143], s[22:23], v[88:89]
	v_add_f64 v[6:7], v[12:13], v[6:7]
	v_fma_f64 v[88:89], v[144:145], s[22:23], -v[90:91]
	v_mul_f64 v[90:91], v[239:240], s[42:43]
	v_add_f64 v[8:9], v[18:19], v[8:9]
	v_mul_f64 v[18:19], v[239:240], s[38:39]
	v_fma_f64 v[12:13], v[156:157], s[8:9], v[14:15]
	v_mul_f64 v[14:15], v[239:240], s[36:37]
	v_add_f64 v[10:11], v[88:89], v[10:11]
	v_mul_f64 v[88:89], v[106:107], s[42:43]
	buffer_store_dword v14, off, s[60:63], 0 offset:220 ; 4-byte Folded Spill
	s_nop 0
	buffer_store_dword v15, off, s[60:63], 0 offset:224 ; 4-byte Folded Spill
	buffer_store_dword v16, off, s[60:63], 0 offset:236 ; 4-byte Folded Spill
	s_nop 0
	buffer_store_dword v17, off, s[60:63], 0 offset:240 ; 4-byte Folded Spill
	;; [unrolled: 3-line block ×5, first 2 shown]
	v_add_f64 v[12:13], v[12:13], v[0:1]
	buffer_store_dword v92, off, s[60:63], 0 offset:276 ; 4-byte Folded Spill
	s_nop 0
	buffer_store_dword v93, off, s[60:63], 0 offset:280 ; 4-byte Folded Spill
	buffer_store_dword v98, off, s[60:63], 0 offset:284 ; 4-byte Folded Spill
	s_nop 0
	buffer_store_dword v99, off, s[60:63], 0 offset:288 ; 4-byte Folded Spill
	v_fma_f64 v[0:1], v[160:161], s[8:9], -v[14:15]
	v_fma_f64 v[14:15], v[156:157], s[22:23], v[16:17]
	v_fma_f64 v[16:17], v[160:161], s[22:23], -v[18:19]
	v_fma_f64 v[18:19], v[156:157], s[16:17], v[88:89]
	v_fma_f64 v[88:89], v[160:161], s[16:17], -v[90:91]
	v_add_f64 v[90:91], v[0:1], v[2:3]
	v_mul_f64 v[0:1], v[188:189], s[46:47]
	buffer_store_dword v0, off, s[60:63], 0 offset:292 ; 4-byte Folded Spill
	s_nop 0
	buffer_store_dword v1, off, s[60:63], 0 offset:296 ; 4-byte Folded Spill
	v_add_f64 v[8:9], v[18:19], v[8:9]
	v_mul_f64 v[2:3], v[188:189], s[48:49]
	v_add_f64 v[4:5], v[14:15], v[4:5]
	v_add_f64 v[6:7], v[16:17], v[6:7]
	v_fma_f64 v[14:15], v[172:173], s[16:17], v[92:93]
	v_fma_f64 v[16:17], v[174:175], s[16:17], -v[98:99]
	v_add_f64 v[10:11], v[88:89], v[10:11]
	v_mul_f64 v[88:89], v[100:101], s[48:49]
	v_mul_f64 v[92:93], v[186:187], s[42:43]
	;; [unrolled: 1-line block ×3, first 2 shown]
	v_add_f64 v[12:13], v[14:15], v[12:13]
	v_add_f64 v[14:15], v[16:17], v[90:91]
	v_mul_f64 v[90:91], v[148:149], s[42:43]
	v_fma_f64 v[18:19], v[172:173], s[20:21], v[0:1]
	v_mul_f64 v[0:1], v[100:101], s[46:47]
	buffer_store_dword v0, off, s[60:63], 0 offset:396 ; 4-byte Folded Spill
	s_nop 0
	buffer_store_dword v1, off, s[60:63], 0 offset:400 ; 4-byte Folded Spill
	buffer_store_dword v2, off, s[60:63], 0 offset:412 ; 4-byte Folded Spill
	s_nop 0
	buffer_store_dword v3, off, s[60:63], 0 offset:416 ; 4-byte Folded Spill
	v_add_f64 v[4:5], v[18:19], v[4:5]
	buffer_store_dword v88, off, s[60:63], 0 offset:508 ; 4-byte Folded Spill
	s_nop 0
	buffer_store_dword v89, off, s[60:63], 0 offset:512 ; 4-byte Folded Spill
	v_fma_f64 v[16:17], v[174:175], s[20:21], -v[0:1]
	v_fma_f64 v[18:19], v[172:173], s[10:11], v[2:3]
	v_mul_f64 v[0:1], v[148:149], s[34:35]
	v_mul_f64 v[2:3], v[186:187], s[34:35]
	buffer_store_dword v0, off, s[60:63], 0 offset:332 ; 4-byte Folded Spill
	s_nop 0
	buffer_store_dword v1, off, s[60:63], 0 offset:336 ; 4-byte Folded Spill
	buffer_store_dword v2, off, s[60:63], 0 offset:348 ; 4-byte Folded Spill
	s_nop 0
	buffer_store_dword v3, off, s[60:63], 0 offset:352 ; 4-byte Folded Spill
	v_add_f64 v[6:7], v[16:17], v[6:7]
	v_add_f64 v[8:9], v[18:19], v[8:9]
	buffer_store_dword v90, off, s[60:63], 0 offset:364 ; 4-byte Folded Spill
	s_nop 0
	buffer_store_dword v91, off, s[60:63], 0 offset:368 ; 4-byte Folded Spill
	buffer_store_dword v92, off, s[60:63], 0 offset:492 ; 4-byte Folded Spill
	s_nop 0
	buffer_store_dword v93, off, s[60:63], 0 offset:496 ; 4-byte Folded Spill
	buffer_store_dword v98, off, s[60:63], 0 offset:500 ; 4-byte Folded Spill
	s_nop 0
	buffer_store_dword v99, off, s[60:63], 0 offset:504 ; 4-byte Folded Spill
	v_fma_f64 v[88:89], v[174:175], s[10:11], -v[88:89]
	v_add_f64 v[10:11], v[88:89], v[10:11]
	v_fma_f64 v[16:17], v[192:193], s[18:19], v[0:1]
	v_fma_f64 v[18:19], v[194:195], s[18:19], -v[2:3]
	v_mul_f64 v[0:1], v[164:165], s[52:53]
	v_mul_f64 v[2:3], v[140:141], s[52:53]
	buffer_store_dword v0, off, s[60:63], 0 offset:444 ; 4-byte Folded Spill
	s_nop 0
	buffer_store_dword v1, off, s[60:63], 0 offset:448 ; 4-byte Folded Spill
	buffer_store_dword v2, off, s[60:63], 0 offset:460 ; 4-byte Folded Spill
	s_nop 0
	buffer_store_dword v3, off, s[60:63], 0 offset:464 ; 4-byte Folded Spill
	v_fma_f64 v[88:89], v[192:193], s[16:17], v[90:91]
	v_add_f64 v[14:15], v[18:19], v[14:15]
	v_add_f64 v[12:13], v[16:17], v[12:13]
	v_fma_f64 v[16:17], v[194:195], s[4:5], -v[208:209]
	v_fma_f64 v[90:91], v[194:195], s[16:17], -v[92:93]
	v_fma_f64 v[92:93], v[192:193], s[4:5], v[98:99]
	v_mul_f64 v[98:99], v[225:226], s[38:39]
	v_add_f64 v[4:5], v[88:89], v[4:5]
	v_add_f64 v[10:11], v[16:17], v[10:11]
	;; [unrolled: 1-line block ×4, first 2 shown]
	v_fma_f64 v[92:93], v[223:224], s[4:5], -v[213:214]
	v_fma_f64 v[90:91], v[221:222], s[4:5], v[217:218]
	v_fma_f64 v[18:19], v[206:207], s[20:21], v[0:1]
	v_fma_f64 v[88:89], v[210:211], s[20:21], -v[2:3]
	v_mul_f64 v[0:1], v[164:165], s[54:55]
	v_mul_f64 v[2:3], v[164:165], s[36:37]
	buffer_store_dword v0, off, s[60:63], 0 offset:476 ; 4-byte Folded Spill
	s_nop 0
	buffer_store_dword v1, off, s[60:63], 0 offset:480 ; 4-byte Folded Spill
	buffer_store_dword v2, off, s[60:63], 0 offset:532 ; 4-byte Folded Spill
	s_nop 0
	buffer_store_dword v3, off, s[60:63], 0 offset:536 ; 4-byte Folded Spill
	v_add_f64 v[14:15], v[88:89], v[14:15]
	v_add_f64 v[12:13], v[18:19], v[12:13]
	v_fma_f64 v[18:19], v[210:211], s[6:7], -v[219:220]
	v_add_f64 v[6:7], v[18:19], v[6:7]
	v_add_f64 v[204:205], v[92:93], v[6:7]
	v_fma_f64 v[6:7], v[223:224], s[20:21], -v[229:230]
	v_fma_f64 v[16:17], v[206:207], s[6:7], v[0:1]
	v_fma_f64 v[88:89], v[206:207], s[8:9], v[2:3]
	v_mul_f64 v[0:1], v[168:169], s[38:39]
	v_mul_f64 v[2:3], v[166:167], s[38:39]
	buffer_store_dword v0, off, s[60:63], 0 offset:516 ; 4-byte Folded Spill
	s_nop 0
	buffer_store_dword v1, off, s[60:63], 0 offset:520 ; 4-byte Folded Spill
	buffer_store_dword v2, off, s[60:63], 0 offset:524 ; 4-byte Folded Spill
	s_nop 0
	buffer_store_dword v3, off, s[60:63], 0 offset:528 ; 4-byte Folded Spill
	;; [unrolled: 3-line block ×3, first 2 shown]
	v_add_f64 v[4:5], v[16:17], v[4:5]
	v_fma_f64 v[16:17], v[210:211], s[8:9], -v[231:232]
	v_add_f64 v[8:9], v[88:89], v[8:9]
	v_add_f64 v[202:203], v[90:91], v[4:5]
	;; [unrolled: 1-line block ×3, first 2 shown]
	v_fma_f64 v[4:5], v[221:222], s[20:21], v[227:228]
	v_fma_f64 v[18:19], v[221:222], s[22:23], v[0:1]
	v_fma_f64 v[88:89], v[223:224], s[22:23], -v[2:3]
	v_fma_f64 v[16:17], v[102:103], s[8:9], v[96:97]
	v_add_f64 v[2:3], v[6:7], v[10:11]
	v_fma_f64 v[6:7], v[104:105], s[8:9], -v[243:244]
	v_add_f64 v[0:1], v[4:5], v[8:9]
	v_fma_f64 v[4:5], v[122:123], s[22:23], v[241:242]
	v_fma_f64 v[8:9], v[126:127], s[22:23], -v[98:99]
	v_add_f64 v[198:199], v[18:19], v[12:13]
	v_mul_f64 v[96:97], v[148:149], s[52:53]
	v_add_f64 v[12:13], v[20:21], v[16:17]
	buffer_store_dword v0, off, s[60:63], 0 offset:8 ; 4-byte Folded Spill
	s_nop 0
	buffer_store_dword v1, off, s[60:63], 0 offset:12 ; 4-byte Folded Spill
	buffer_store_dword v2, off, s[60:63], 0 offset:16 ; 4-byte Folded Spill
	;; [unrolled: 1-line block ×3, first 2 shown]
	v_add_f64 v[6:7], v[22:23], v[6:7]
	v_add_f64 v[200:201], v[88:89], v[14:15]
	v_add_f64 v[4:5], v[4:5], v[12:13]
	v_add_f64 v[6:7], v[8:9], v[6:7]
	v_fma_f64 v[8:9], v[142:143], s[16:17], v[249:250]
	v_add_f64 v[4:5], v[8:9], v[4:5]
	v_fma_f64 v[8:9], v[144:145], s[16:17], -v[110:111]
	v_add_f64 v[6:7], v[8:9], v[6:7]
	v_fma_f64 v[8:9], v[156:157], s[4:5], v[245:246]
	v_add_f64 v[4:5], v[8:9], v[4:5]
	v_fma_f64 v[8:9], v[160:161], s[4:5], -v[108:109]
	v_add_f64 v[6:7], v[8:9], v[6:7]
	;; [unrolled: 4-line block ×5, first 2 shown]
	v_fma_f64 v[8:9], v[221:222], s[10:11], v[247:248]
	v_add_f64 v[0:1], v[8:9], v[4:5]
	v_fma_f64 v[4:5], v[223:224], s[10:11], -v[118:119]
	v_fma_f64 v[8:9], v[126:127], s[20:21], -v[138:139]
	v_add_f64 v[2:3], v[4:5], v[6:7]
	v_fma_f64 v[4:5], v[102:103], s[16:17], v[120:121]
	v_fma_f64 v[6:7], v[122:123], s[20:21], v[124:125]
	buffer_store_dword v0, off, s[60:63], 0 offset:24 ; 4-byte Folded Spill
	s_nop 0
	buffer_store_dword v1, off, s[60:63], 0 offset:28 ; 4-byte Folded Spill
	buffer_store_dword v2, off, s[60:63], 0 offset:32 ; 4-byte Folded Spill
	;; [unrolled: 1-line block ×3, first 2 shown]
	v_add_f64 v[4:5], v[20:21], v[4:5]
	v_add_f64 v[4:5], v[6:7], v[4:5]
	v_fma_f64 v[6:7], v[104:105], s[16:17], -v[136:137]
	v_add_f64 v[6:7], v[22:23], v[6:7]
	v_add_f64 v[8:9], v[8:9], v[6:7]
	v_mul_f64 v[6:7], v[237:238], s[48:49]
	v_fma_f64 v[10:11], v[142:143], s[10:11], v[6:7]
	v_add_f64 v[10:11], v[10:11], v[4:5]
	v_fma_f64 v[4:5], v[144:145], s[10:11], -v[150:151]
	v_add_f64 v[8:9], v[4:5], v[8:9]
	v_mul_f64 v[4:5], v[106:107], s[30:31]
	v_fma_f64 v[12:13], v[156:157], s[6:7], v[4:5]
	v_add_f64 v[10:11], v[12:13], v[10:11]
	v_fma_f64 v[12:13], v[160:161], s[6:7], -v[146:147]
	v_add_f64 v[8:9], v[12:13], v[8:9]
	v_fma_f64 v[12:13], v[172:173], s[22:23], v[128:129]
	v_add_f64 v[10:11], v[12:13], v[10:11]
	v_fma_f64 v[12:13], v[174:175], s[22:23], -v[152:153]
	v_add_f64 v[8:9], v[12:13], v[8:9]
	;; [unrolled: 4-line block ×5, first 2 shown]
	buffer_store_dword v0, off, s[60:63], 0 offset:40 ; 4-byte Folded Spill
	s_nop 0
	buffer_store_dword v1, off, s[60:63], 0 offset:44 ; 4-byte Folded Spill
	buffer_store_dword v2, off, s[60:63], 0 offset:48 ; 4-byte Folded Spill
	;; [unrolled: 1-line block ×3, first 2 shown]
	s_waitcnt vmcnt(0)
	s_barrier
	s_and_saveexec_b64 s[28:29], vcc
	s_cbranch_execz .LBB0_7
; %bb.6:
	v_mul_f64 v[8:9], v[104:105], s[22:23]
	v_mul_f64 v[12:13], v[126:127], s[4:5]
	;; [unrolled: 1-line block ×4, first 2 shown]
	buffer_store_dword v94, off, s[60:63], 0 offset:548 ; 4-byte Folded Spill
	s_nop 0
	buffer_store_dword v95, off, s[60:63], 0 offset:552 ; 4-byte Folded Spill
	v_mul_f64 v[94:95], v[237:238], s[52:53]
	buffer_store_dword v170, off, s[60:63], 0 offset:556 ; 4-byte Folded Spill
	s_nop 0
	buffer_store_dword v171, off, s[60:63], 0 offset:560 ; 4-byte Folded Spill
	v_mul_f64 v[170:171], v[160:161], s[10:11]
	v_fma_f64 v[10:11], v[196:197], s[44:45], v[8:9]
	v_fma_f64 v[14:15], v[225:226], s[24:25], v[12:13]
	;; [unrolled: 1-line block ×5, first 2 shown]
	v_mul_f64 v[0:1], v[106:107], s[48:49]
	v_mul_f64 v[2:3], v[174:175], s[18:19]
	buffer_store_dword v176, off, s[60:63], 0 offset:564 ; 4-byte Folded Spill
	s_nop 0
	buffer_store_dword v177, off, s[60:63], 0 offset:568 ; 4-byte Folded Spill
	v_add_f64 v[10:11], v[22:23], v[10:11]
	v_mul_f64 v[176:177], v[188:189], s[34:35]
	v_add_f64 v[8:9], v[22:23], v[8:9]
	buffer_store_dword v182, off, s[60:63], 0 offset:572 ; 4-byte Folded Spill
	s_nop 0
	buffer_store_dword v183, off, s[60:63], 0 offset:576 ; 4-byte Folded Spill
	v_mul_f64 v[182:183], v[194:195], s[6:7]
	buffer_store_dword v178, off, s[60:63], 0 offset:596 ; 4-byte Folded Spill
	s_nop 0
	buffer_store_dword v179, off, s[60:63], 0 offset:600 ; 4-byte Folded Spill
	v_mul_f64 v[178:179], v[148:149], s[54:55]
	buffer_store_dword v180, off, s[60:63], 0 offset:580 ; 4-byte Folded Spill
	s_nop 0
	buffer_store_dword v181, off, s[60:63], 0 offset:584 ; 4-byte Folded Spill
	v_add_f64 v[10:11], v[14:15], v[10:11]
	v_mul_f64 v[14:15], v[215:216], s[38:39]
	v_add_f64 v[8:9], v[12:13], v[8:9]
	v_mul_f64 v[180:181], v[210:211], s[16:17]
	buffer_store_dword v202, off, s[60:63], 0 offset:60 ; 4-byte Folded Spill
	s_nop 0
	buffer_store_dword v203, off, s[60:63], 0 offset:64 ; 4-byte Folded Spill
	buffer_store_dword v204, off, s[60:63], 0 offset:68 ; 4-byte Folded Spill
	;; [unrolled: 1-line block ×3, first 2 shown]
	v_mov_b32_e32 v204, v201
	v_mov_b32_e32 v90, v184
	;; [unrolled: 1-line block ×4, first 2 shown]
	v_fma_f64 v[16:17], v[102:103], s[22:23], v[14:15]
	v_fma_f64 v[12:13], v[102:103], s[22:23], -v[14:15]
	v_fma_f64 v[14:15], v[122:123], s[4:5], -v[18:19]
	v_mov_b32_e32 v201, v198
	v_mov_b32_e32 v200, v185
	v_mul_f64 v[184:185], v[164:165], s[40:41]
	v_mul_f64 v[190:191], v[223:224], s[8:9]
	buffer_store_dword v219, off, s[60:63], 0 offset:588 ; 4-byte Folded Spill
	s_nop 0
	buffer_store_dword v220, off, s[60:63], 0 offset:592 ; 4-byte Folded Spill
	v_add_f64 v[16:17], v[20:21], v[16:17]
	v_add_f64 v[12:13], v[20:21], v[12:13]
	buffer_store_dword v217, off, s[60:63], 0 offset:540 ; 4-byte Folded Spill
	s_nop 0
	buffer_store_dword v218, off, s[60:63], 0 offset:544 ; 4-byte Folded Spill
	v_mul_f64 v[198:199], v[223:224], s[16:17]
	v_add_f64 v[16:17], v[88:89], v[16:17]
	v_fma_f64 v[88:89], v[235:236], s[46:47], v[92:93]
	v_add_f64 v[12:13], v[14:15], v[12:13]
	v_fma_f64 v[14:15], v[235:236], s[52:53], v[92:93]
	v_add_f64 v[10:11], v[88:89], v[10:11]
	v_fma_f64 v[88:89], v[142:143], s[20:21], v[94:95]
	v_add_f64 v[8:9], v[14:15], v[8:9]
	v_fma_f64 v[14:15], v[142:143], s[20:21], -v[94:95]
	v_add_f64 v[16:17], v[88:89], v[16:17]
	v_fma_f64 v[88:89], v[239:240], s[26:27], v[170:171]
	v_add_f64 v[12:13], v[14:15], v[12:13]
	v_fma_f64 v[14:15], v[239:240], s[48:49], v[170:171]
	v_mul_f64 v[170:171], v[215:216], s[52:53]
	v_add_f64 v[10:11], v[88:89], v[10:11]
	v_fma_f64 v[88:89], v[156:157], s[10:11], v[0:1]
	v_add_f64 v[8:9], v[14:15], v[8:9]
	v_fma_f64 v[0:1], v[156:157], s[10:11], -v[0:1]
	v_add_f64 v[16:17], v[88:89], v[16:17]
	v_fma_f64 v[88:89], v[100:101], s[58:59], v[2:3]
	v_fma_f64 v[2:3], v[100:101], s[34:35], v[2:3]
	v_add_f64 v[0:1], v[0:1], v[12:13]
	v_mul_f64 v[12:13], v[126:127], s[6:7]
	v_add_f64 v[10:11], v[88:89], v[10:11]
	v_fma_f64 v[88:89], v[172:173], s[18:19], v[176:177]
	v_add_f64 v[2:3], v[2:3], v[8:9]
	v_fma_f64 v[8:9], v[172:173], s[18:19], -v[176:177]
	v_fma_f64 v[14:15], v[225:226], s[30:31], v[12:13]
	v_fma_f64 v[12:13], v[225:226], s[54:55], v[12:13]
	v_mul_f64 v[176:177], v[233:234], s[54:55]
	v_add_f64 v[16:17], v[88:89], v[16:17]
	v_fma_f64 v[88:89], v[186:187], s[30:31], v[182:183]
	v_add_f64 v[0:1], v[8:9], v[0:1]
	v_fma_f64 v[8:9], v[186:187], s[54:55], v[182:183]
	v_mul_f64 v[182:183], v[188:189], s[24:25]
	v_add_f64 v[10:11], v[88:89], v[10:11]
	v_fma_f64 v[88:89], v[192:193], s[6:7], v[178:179]
	v_add_f64 v[2:3], v[8:9], v[2:3]
	v_fma_f64 v[8:9], v[140:141], s[40:41], v[180:181]
	;; [unrolled: 2-line block ×3, first 2 shown]
	v_add_f64 v[2:3], v[8:9], v[2:3]
	v_fma_f64 v[8:9], v[192:193], s[6:7], -v[178:179]
	v_mul_f64 v[178:179], v[237:238], s[36:37]
	v_mul_f64 v[180:181], v[106:107], s[58:59]
	;; [unrolled: 1-line block ×3, first 2 shown]
	v_add_f64 v[10:11], v[88:89], v[10:11]
	v_fma_f64 v[88:89], v[206:207], s[16:17], v[184:185]
	v_add_f64 v[0:1], v[8:9], v[0:1]
	v_fma_f64 v[8:9], v[206:207], s[16:17], -v[184:185]
	v_mul_f64 v[184:185], v[148:149], s[38:39]
	v_mul_f64 v[148:149], v[148:149], s[26:27]
	v_add_f64 v[16:17], v[88:89], v[16:17]
	v_fma_f64 v[88:89], v[166:167], s[36:37], v[190:191]
	v_add_f64 v[0:1], v[8:9], v[0:1]
	v_fma_f64 v[8:9], v[166:167], s[56:57], v[190:191]
	v_mul_f64 v[190:191], v[164:165], s[48:49]
	v_mul_f64 v[164:165], v[164:165], s[38:39]
	v_add_f64 v[219:220], v[88:89], v[10:11]
	v_mul_f64 v[10:11], v[168:169], s[56:57]
	v_add_f64 v[94:95], v[8:9], v[2:3]
	v_mul_f64 v[8:9], v[104:105], s[20:21]
	v_add_f64 v[2:3], v[20:21], v[80:81]
	v_fma_f64 v[88:89], v[221:222], s[8:9], v[10:11]
	v_fma_f64 v[10:11], v[221:222], s[8:9], -v[10:11]
	v_add_f64 v[2:3], v[84:85], v[2:3]
	v_mul_f64 v[84:85], v[194:195], s[22:23]
	v_add_f64 v[217:218], v[88:89], v[16:17]
	v_add_f64 v[92:93], v[10:11], v[0:1]
	v_fma_f64 v[10:11], v[196:197], s[46:47], v[8:9]
	v_fma_f64 v[8:9], v[196:197], s[52:53], v[8:9]
	v_add_f64 v[0:1], v[22:23], v[82:83]
	v_fma_f64 v[82:83], v[122:123], s[6:7], v[176:177]
	v_add_f64 v[2:3], v[76:77], v[2:3]
	v_add_f64 v[10:11], v[22:23], v[10:11]
	v_add_f64 v[8:9], v[22:23], v[8:9]
	v_add_f64 v[0:1], v[86:87], v[0:1]
	v_mul_f64 v[86:87], v[210:211], s[10:11]
	v_add_f64 v[2:3], v[72:73], v[2:3]
	v_add_f64 v[10:11], v[14:15], v[10:11]
	v_mul_f64 v[14:15], v[144:145], s[8:9]
	v_add_f64 v[8:9], v[12:13], v[8:9]
	v_add_f64 v[0:1], v[78:79], v[0:1]
	;; [unrolled: 1-line block ×3, first 2 shown]
	v_fma_f64 v[16:17], v[235:236], s[56:57], v[14:15]
	v_fma_f64 v[12:13], v[235:236], s[36:37], v[14:15]
	v_fma_f64 v[14:15], v[122:123], s[6:7], -v[176:177]
	v_add_f64 v[0:1], v[74:75], v[0:1]
	v_mul_f64 v[176:177], v[188:189], s[56:57]
	v_add_f64 v[10:11], v[16:17], v[10:11]
	v_mul_f64 v[16:17], v[160:161], s[18:19]
	v_add_f64 v[8:9], v[12:13], v[8:9]
	v_add_f64 v[0:1], v[70:71], v[0:1]
	v_fma_f64 v[18:19], v[239:240], s[34:35], v[16:17]
	v_fma_f64 v[12:13], v[239:240], s[58:59], v[16:17]
	v_add_f64 v[0:1], v[66:67], v[0:1]
	v_add_f64 v[10:11], v[18:19], v[10:11]
	v_mul_f64 v[18:19], v[174:175], s[4:5]
	v_add_f64 v[8:9], v[12:13], v[8:9]
	v_add_f64 v[0:1], v[26:27], v[0:1]
	v_fma_f64 v[80:81], v[100:101], s[50:51], v[18:19]
	v_fma_f64 v[12:13], v[100:101], s[24:25], v[18:19]
	v_add_f64 v[0:1], v[30:31], v[0:1]
	v_add_f64 v[10:11], v[80:81], v[10:11]
	v_fma_f64 v[80:81], v[186:187], s[44:45], v[84:85]
	v_add_f64 v[8:9], v[12:13], v[8:9]
	v_fma_f64 v[12:13], v[186:187], s[38:39], v[84:85]
	v_mul_f64 v[84:85], v[194:195], s[10:11]
	v_add_f64 v[0:1], v[42:43], v[0:1]
	v_add_f64 v[10:11], v[80:81], v[10:11]
	v_fma_f64 v[80:81], v[140:141], s[26:27], v[86:87]
	v_add_f64 v[8:9], v[12:13], v[8:9]
	v_fma_f64 v[12:13], v[140:141], s[48:49], v[86:87]
	v_mul_f64 v[86:87], v[210:211], s[22:23]
	v_add_f64 v[0:1], v[46:47], v[0:1]
	v_add_f64 v[10:11], v[80:81], v[10:11]
	v_fma_f64 v[80:81], v[102:103], s[20:21], v[170:171]
	v_add_f64 v[8:9], v[12:13], v[8:9]
	v_fma_f64 v[12:13], v[102:103], s[20:21], -v[170:171]
	v_mul_f64 v[170:171], v[237:238], s[24:25]
	v_add_f64 v[0:1], v[34:35], v[0:1]
	v_add_f64 v[80:81], v[20:21], v[80:81]
	;; [unrolled: 1-line block ×5, first 2 shown]
	v_fma_f64 v[82:83], v[142:143], s[8:9], v[178:179]
	v_add_f64 v[12:13], v[14:15], v[12:13]
	v_fma_f64 v[14:15], v[142:143], s[8:9], -v[178:179]
	v_mul_f64 v[178:179], v[223:224], s[6:7]
	v_add_f64 v[0:1], v[50:51], v[0:1]
	v_add_f64 v[80:81], v[82:83], v[80:81]
	v_fma_f64 v[82:83], v[156:157], s[18:19], v[180:181]
	v_add_f64 v[12:13], v[14:15], v[12:13]
	v_fma_f64 v[14:15], v[156:157], s[18:19], -v[180:181]
	v_add_f64 v[0:1], v[54:55], v[0:1]
	v_add_f64 v[80:81], v[82:83], v[80:81]
	v_fma_f64 v[82:83], v[172:173], s[4:5], v[182:183]
	v_add_f64 v[12:13], v[14:15], v[12:13]
	v_fma_f64 v[14:15], v[172:173], s[4:5], -v[182:183]
	;; [unrolled: 5-line block ×3, first 2 shown]
	v_mov_b32_e32 v184, v90
	v_mul_f64 v[90:91], v[233:234], s[42:43]
	v_mov_b32_e32 v185, v200
	v_add_f64 v[80:81], v[82:83], v[80:81]
	v_fma_f64 v[82:83], v[206:207], s[10:11], v[190:191]
	v_add_f64 v[12:13], v[14:15], v[12:13]
	v_fma_f64 v[14:15], v[206:207], s[10:11], -v[190:191]
	v_fma_f64 v[74:75], v[122:123], s[16:17], v[90:91]
	v_add_f64 v[80:81], v[82:83], v[80:81]
	v_fma_f64 v[82:83], v[166:167], s[42:43], v[198:199]
	v_add_f64 v[12:13], v[14:15], v[12:13]
	v_fma_f64 v[14:15], v[166:167], s[40:41], v[198:199]
	v_mov_b32_e32 v198, v201
	v_mov_b32_e32 v199, v202
	v_mov_b32_e32 v200, v203
	v_mov_b32_e32 v201, v204
	buffer_load_dword v202, off, s[60:63], 0 offset:60 ; 4-byte Folded Reload
	buffer_load_dword v203, off, s[60:63], 0 offset:64 ; 4-byte Folded Reload
	;; [unrolled: 1-line block ×4, first 2 shown]
	v_add_f64 v[82:83], v[82:83], v[10:11]
	v_mul_f64 v[10:11], v[168:169], s[40:41]
	v_add_f64 v[78:79], v[14:15], v[8:9]
	v_mul_f64 v[8:9], v[104:105], s[18:19]
	v_mul_f64 v[168:169], v[168:169], s[54:55]
	v_fma_f64 v[88:89], v[221:222], s[16:17], v[10:11]
	v_fma_f64 v[10:11], v[221:222], s[16:17], -v[10:11]
	v_add_f64 v[80:81], v[88:89], v[80:81]
	v_add_f64 v[76:77], v[10:11], v[12:13]
	v_fma_f64 v[10:11], v[196:197], s[58:59], v[8:9]
	v_mul_f64 v[12:13], v[126:127], s[16:17]
	v_mul_f64 v[88:89], v[215:216], s[34:35]
	v_fma_f64 v[8:9], v[196:197], s[34:35], v[8:9]
	v_add_f64 v[10:11], v[22:23], v[10:11]
	v_fma_f64 v[14:15], v[225:226], s[40:41], v[12:13]
	v_fma_f64 v[12:13], v[225:226], s[42:43], v[12:13]
	v_add_f64 v[8:9], v[22:23], v[8:9]
	v_add_f64 v[10:11], v[14:15], v[10:11]
	v_mul_f64 v[14:15], v[144:145], s[4:5]
	v_add_f64 v[8:9], v[12:13], v[8:9]
	v_fma_f64 v[16:17], v[235:236], s[50:51], v[14:15]
	v_add_f64 v[10:11], v[16:17], v[10:11]
	v_mul_f64 v[16:17], v[160:161], s[20:21]
	v_fma_f64 v[18:19], v[239:240], s[46:47], v[16:17]
	v_fma_f64 v[12:13], v[239:240], s[52:53], v[16:17]
	v_mul_f64 v[16:17], v[126:127], s[22:23]
	v_add_f64 v[10:11], v[18:19], v[10:11]
	v_mul_f64 v[18:19], v[174:175], s[8:9]
	v_add_f64 v[16:17], v[98:99], v[16:17]
	v_fma_f64 v[72:73], v[100:101], s[36:37], v[18:19]
	v_add_f64 v[10:11], v[72:73], v[10:11]
	v_fma_f64 v[72:73], v[186:187], s[48:49], v[84:85]
	;; [unrolled: 2-line block ×4, first 2 shown]
	v_add_f64 v[72:73], v[20:21], v[72:73]
	v_add_f64 v[72:73], v[74:75], v[72:73]
	v_fma_f64 v[74:75], v[142:143], s[4:5], v[170:171]
	v_add_f64 v[72:73], v[74:75], v[72:73]
	v_fma_f64 v[74:75], v[156:157], s[20:21], v[106:107]
	;; [unrolled: 2-line block ×8, first 2 shown]
	v_fma_f64 v[14:15], v[122:123], s[16:17], -v[90:91]
	v_add_f64 v[8:9], v[10:11], v[8:9]
	v_fma_f64 v[10:11], v[100:101], s[56:57], v[18:19]
	v_mul_f64 v[18:19], v[102:103], s[8:9]
	v_mul_f64 v[100:101], v[104:105], s[10:11]
	v_add_f64 v[8:9], v[12:13], v[8:9]
	v_fma_f64 v[12:13], v[186:187], s[26:27], v[84:85]
	v_mul_f64 v[84:85], v[126:127], s[18:19]
	v_add_f64 v[8:9], v[10:11], v[8:9]
	v_fma_f64 v[10:11], v[140:141], s[38:39], v[86:87]
	;; [unrolled: 3-line block ×3, first 2 shown]
	v_add_f64 v[8:9], v[10:11], v[8:9]
	v_fma_f64 v[10:11], v[102:103], s[18:19], -v[88:89]
	v_mul_f64 v[88:89], v[221:222], s[10:11]
	v_add_f64 v[70:71], v[12:13], v[8:9]
	v_add_f64 v[10:11], v[20:21], v[10:11]
	v_mul_f64 v[12:13], v[126:127], s[20:21]
	v_add_f64 v[8:9], v[64:65], v[2:3]
	v_mul_f64 v[2:3], v[144:145], s[10:11]
	buffer_load_dword v64, off, s[60:63], 0 offset:172 ; 4-byte Folded Reload
	buffer_load_dword v65, off, s[60:63], 0 offset:176 ; 4-byte Folded Reload
	;; [unrolled: 1-line block ×6, first 2 shown]
	v_add_f64 v[88:89], v[88:89], -v[247:248]
	v_add_f64 v[10:11], v[14:15], v[10:11]
	v_fma_f64 v[14:15], v[142:143], s[4:5], -v[170:171]
	v_add_f64 v[12:13], v[138:139], v[12:13]
	v_add_f64 v[2:3], v[150:151], v[2:3]
	;; [unrolled: 1-line block ×3, first 2 shown]
	v_mul_f64 v[150:151], v[206:207], s[8:9]
	v_add_f64 v[10:11], v[14:15], v[10:11]
	v_fma_f64 v[14:15], v[156:157], s[20:21], -v[106:107]
	v_mul_f64 v[106:107], v[126:127], s[10:11]
	v_add_f64 v[8:9], v[28:29], v[8:9]
	v_add_f64 v[10:11], v[14:15], v[10:11]
	v_fma_f64 v[14:15], v[172:173], s[8:9], -v[176:177]
	v_add_f64 v[8:9], v[40:41], v[8:9]
	v_add_f64 v[10:11], v[14:15], v[10:11]
	v_fma_f64 v[14:15], v[192:193], s[10:11], -v[148:149]
	v_add_f64 v[8:9], v[44:45], v[8:9]
	v_mul_f64 v[148:149], v[210:211], s[6:7]
	v_add_f64 v[10:11], v[14:15], v[10:11]
	v_fma_f64 v[14:15], v[206:207], s[22:23], -v[164:165]
	v_add_f64 v[8:9], v[32:33], v[8:9]
	v_add_f64 v[10:11], v[14:15], v[10:11]
	v_fma_f64 v[14:15], v[221:222], s[6:7], -v[168:169]
	v_add_f64 v[8:9], v[36:37], v[8:9]
	v_add_f64 v[68:69], v[14:15], v[10:11]
	v_mul_f64 v[10:11], v[104:105], s[16:17]
	v_mul_f64 v[14:15], v[122:123], s[20:21]
	v_add_f64 v[8:9], v[48:49], v[8:9]
	v_add_f64 v[10:11], v[136:137], v[10:11]
	v_add_f64 v[14:15], v[14:15], -v[124:125]
	v_mul_f64 v[136:137], v[172:173], s[10:11]
	v_add_f64 v[8:9], v[52:53], v[8:9]
	v_add_f64 v[10:11], v[22:23], v[10:11]
	;; [unrolled: 1-line block ×3, first 2 shown]
	s_waitcnt vmcnt(4)
	v_add_f64 v[18:19], v[18:19], -v[64:65]
	v_mul_f64 v[64:65], v[122:123], s[22:23]
	s_waitcnt vmcnt(0)
	v_add_f64 v[84:85], v[86:87], v[84:85]
	v_add_f64 v[10:11], v[12:13], v[10:11]
	v_mul_f64 v[12:13], v[160:161], s[6:7]
	buffer_load_dword v86, off, s[60:63], 0 offset:324 ; 4-byte Folded Reload
	buffer_load_dword v87, off, s[60:63], 0 offset:328 ; 4-byte Folded Reload
	;; [unrolled: 1-line block ×6, first 2 shown]
	v_add_f64 v[18:19], v[20:21], v[18:19]
	v_add_f64 v[64:65], v[64:65], -v[241:242]
	v_add_f64 v[2:3], v[2:3], v[10:11]
	v_add_f64 v[12:13], v[146:147], v[12:13]
	v_mul_f64 v[10:11], v[174:175], s[22:23]
	v_mul_f64 v[146:147], v[206:207], s[6:7]
	v_add_f64 v[18:19], v[64:65], v[18:19]
	v_mul_f64 v[64:65], v[156:157], s[4:5]
	v_add_f64 v[2:3], v[12:13], v[2:3]
	v_add_f64 v[10:11], v[152:153], v[10:11]
	v_mul_f64 v[12:13], v[194:195], s[8:9]
	v_add_f64 v[64:65], v[64:65], -v[245:246]
	v_add_f64 v[2:3], v[10:11], v[2:3]
	v_add_f64 v[12:13], v[154:155], v[12:13]
	v_mul_f64 v[10:11], v[210:211], s[4:5]
	v_mul_f64 v[154:155], v[223:224], s[4:5]
	v_add_f64 v[2:3], v[12:13], v[2:3]
	v_add_f64 v[10:11], v[158:159], v[10:11]
	v_mul_f64 v[12:13], v[223:224], s[18:19]
	v_add_f64 v[2:3], v[10:11], v[2:3]
	v_mul_f64 v[10:11], v[142:143], s[10:11]
	v_add_f64 v[12:13], v[162:163], v[12:13]
	v_add_f64 v[6:7], v[10:11], -v[6:7]
	v_mul_f64 v[10:11], v[102:103], s[16:17]
	v_add_f64 v[2:3], v[12:13], v[2:3]
	v_add_f64 v[10:11], v[10:11], -v[120:121]
	v_mul_f64 v[120:121], v[144:145], s[18:19]
	v_add_f64 v[10:11], v[20:21], v[10:11]
	v_add_f64 v[10:11], v[14:15], v[10:11]
	v_mul_f64 v[14:15], v[156:157], s[6:7]
	v_add_f64 v[6:7], v[6:7], v[10:11]
	v_add_f64 v[4:5], v[14:15], -v[4:5]
	v_mul_f64 v[10:11], v[172:173], s[22:23]
	v_add_f64 v[4:5], v[4:5], v[6:7]
	v_add_f64 v[10:11], v[10:11], -v[128:129]
	v_mul_f64 v[6:7], v[192:193], s[8:9]
	v_mul_f64 v[128:129], v[160:161], s[22:23]
	v_add_f64 v[4:5], v[10:11], v[4:5]
	v_add_f64 v[6:7], v[6:7], -v[130:131]
	v_mul_f64 v[10:11], v[206:207], s[4:5]
	v_add_f64 v[4:5], v[6:7], v[4:5]
	v_mul_f64 v[6:7], v[221:222], s[18:19]
	v_add_f64 v[10:11], v[10:11], -v[132:133]
	v_add_f64 v[14:15], v[6:7], -v[134:135]
	v_mul_f64 v[6:7], v[104:105], s[8:9]
	v_add_f64 v[10:11], v[10:11], v[4:5]
	v_mul_f64 v[4:5], v[144:145], s[16:17]
	v_mul_f64 v[134:135], v[174:175], s[20:21]
	v_add_f64 v[6:7], v[243:244], v[6:7]
	v_add_f64 v[4:5], v[110:111], v[4:5]
	v_mul_f64 v[110:111], v[122:123], s[18:19]
	v_add_f64 v[6:7], v[22:23], v[6:7]
	v_add_f64 v[6:7], v[16:17], v[6:7]
	;; [unrolled: 3-line block ×3, first 2 shown]
	v_mul_f64 v[6:7], v[174:175], s[6:7]
	v_mul_f64 v[108:109], v[126:127], s[8:9]
	v_mul_f64 v[126:127], v[156:157], s[22:23]
	v_add_f64 v[4:5], v[16:17], v[4:5]
	v_add_f64 v[6:7], v[112:113], v[6:7]
	v_mul_f64 v[16:17], v[194:195], s[20:21]
	buffer_load_dword v112, off, s[60:63], 0 offset:380 ; 4-byte Folded Reload
	buffer_load_dword v113, off, s[60:63], 0 offset:384 ; 4-byte Folded Reload
	v_add_f64 v[4:5], v[6:7], v[4:5]
	v_add_f64 v[16:17], v[114:115], v[16:17]
	v_mul_f64 v[6:7], v[210:211], s[18:19]
	buffer_load_dword v114, off, s[60:63], 0 offset:92 ; 4-byte Folded Reload
	buffer_load_dword v115, off, s[60:63], 0 offset:96 ; 4-byte Folded Reload
	v_add_f64 v[4:5], v[16:17], v[4:5]
	v_add_f64 v[6:7], v[116:117], v[6:7]
	buffer_load_dword v116, off, s[60:63], 0 offset:596 ; 4-byte Folded Reload
	buffer_load_dword v117, off, s[60:63], 0 offset:600 ; 4-byte Folded Reload
	v_mul_f64 v[16:17], v[223:224], s[10:11]
	v_add_f64 v[4:5], v[6:7], v[4:5]
	v_mul_f64 v[6:7], v[142:143], s[16:17]
	v_add_f64 v[16:17], v[118:119], v[16:17]
	v_mul_f64 v[118:119], v[142:143], s[18:19]
	v_add_f64 v[6:7], v[6:7], -v[249:250]
	v_add_f64 v[6:7], v[6:7], v[18:19]
	v_mul_f64 v[18:19], v[172:173], s[6:7]
	v_add_f64 v[6:7], v[64:65], v[6:7]
	v_mul_f64 v[64:65], v[104:105], s[6:7]
	v_add_f64 v[18:19], v[18:19], -v[253:254]
	v_add_f64 v[64:65], v[66:67], v[64:65]
	v_add_f64 v[6:7], v[18:19], v[6:7]
	v_mul_f64 v[18:19], v[144:145], s[22:23]
	v_mul_f64 v[66:67], v[192:193], s[20:21]
	v_add_f64 v[64:65], v[22:23], v[64:65]
	s_waitcnt vmcnt(10)
	v_add_f64 v[18:19], v[86:87], v[18:19]
	v_add_f64 v[66:67], v[66:67], -v[96:97]
	v_mul_f64 v[86:87], v[206:207], s[18:19]
	v_mul_f64 v[96:97], v[210:211], s[8:9]
	v_add_f64 v[64:65], v[84:85], v[64:65]
	v_mul_f64 v[84:85], v[160:161], s[16:17]
	v_add_f64 v[6:7], v[66:67], v[6:7]
	v_mul_f64 v[66:67], v[104:105], s[4:5]
	v_mul_f64 v[104:105], v[122:123], s[10:11]
	v_add_f64 v[86:87], v[86:87], -v[251:252]
	v_add_f64 v[96:97], v[231:232], v[96:97]
	v_add_f64 v[18:19], v[18:19], v[64:65]
	s_waitcnt vmcnt(8)
	v_add_f64 v[84:85], v[90:91], v[84:85]
	v_mul_f64 v[90:91], v[174:175], s[10:11]
	v_mul_f64 v[64:65], v[102:103], s[4:5]
	v_add_f64 v[86:87], v[86:87], v[6:7]
	v_mul_f64 v[6:7], v[156:157], s[16:17]
	v_add_f64 v[18:19], v[84:85], v[18:19]
	s_waitcnt vmcnt(6)
	v_add_f64 v[90:91], v[98:99], v[90:91]
	v_mul_f64 v[84:85], v[102:103], s[10:11]
	v_mul_f64 v[102:103], v[102:103], s[6:7]
	;; [unrolled: 1-line block ×3, first 2 shown]
	s_waitcnt vmcnt(4)
	v_add_f64 v[6:7], v[6:7], -v[112:113]
	s_waitcnt vmcnt(0)
	v_add_f64 v[100:101], v[116:117], v[100:101]
	v_mul_f64 v[116:117], v[144:145], s[6:7]
	v_add_f64 v[18:19], v[90:91], v[18:19]
	v_mul_f64 v[90:91], v[122:123], s[8:9]
	buffer_load_dword v122, off, s[60:63], 0 offset:180 ; 4-byte Folded Reload
	buffer_load_dword v123, off, s[60:63], 0 offset:184 ; 4-byte Folded Reload
	;; [unrolled: 1-line block ×4, first 2 shown]
	v_add_f64 v[102:103], v[102:103], -v[114:115]
	v_mul_f64 v[114:115], v[142:143], s[22:23]
	v_add_f64 v[98:99], v[208:209], v[98:99]
	buffer_load_dword v130, off, s[60:63], 0 offset:124 ; 4-byte Folded Reload
	buffer_load_dword v131, off, s[60:63], 0 offset:128 ; 4-byte Folded Reload
	;; [unrolled: 1-line block ×8, first 2 shown]
	v_add_f64 v[100:101], v[22:23], v[100:101]
	v_add_f64 v[102:103], v[20:21], v[102:103]
	v_mul_f64 v[112:113], v[142:143], s[6:7]
	v_add_f64 v[18:19], v[98:99], v[18:19]
	v_mul_f64 v[142:143], v[192:193], s[4:5]
	v_mul_f64 v[98:99], v[223:224], s[20:21]
	v_add_f64 v[18:19], v[96:97], v[18:19]
	s_waitcnt vmcnt(10)
	v_add_f64 v[110:111], v[110:111], -v[122:123]
	s_waitcnt vmcnt(8)
	v_add_f64 v[114:115], v[114:115], -v[124:125]
	v_mul_f64 v[124:125], v[160:161], s[8:9]
	v_mul_f64 v[122:123], v[156:157], s[8:9]
	;; [unrolled: 1-line block ×3, first 2 shown]
	s_waitcnt vmcnt(6)
	v_add_f64 v[108:109], v[130:131], v[108:109]
	s_waitcnt vmcnt(4)
	v_add_f64 v[120:121], v[132:133], v[120:121]
	v_mul_f64 v[132:133], v[172:173], s[20:21]
	v_add_f64 v[102:103], v[110:111], v[102:103]
	v_mul_f64 v[110:111], v[174:175], s[16:17]
	v_mul_f64 v[130:131], v[172:173], s[16:17]
	s_waitcnt vmcnt(2)
	v_add_f64 v[128:129], v[138:139], v[128:129]
	v_mul_f64 v[138:139], v[192:193], s[16:17]
	v_add_f64 v[100:101], v[108:109], v[100:101]
	v_mul_f64 v[108:109], v[192:193], s[18:19]
	s_waitcnt vmcnt(0)
	v_add_f64 v[136:137], v[136:137], -v[144:145]
	v_add_f64 v[102:103], v[114:115], v[102:103]
	v_mul_f64 v[114:115], v[194:195], s[18:19]
	v_mul_f64 v[144:145], v[210:211], s[20:21]
	v_add_f64 v[100:101], v[120:121], v[100:101]
	v_mul_f64 v[120:121], v[206:207], s[20:21]
	v_add_f64 v[102:103], v[6:7], v[102:103]
	buffer_load_dword v6, off, s[60:63], 0 offset:396 ; 4-byte Folded Reload
	buffer_load_dword v7, off, s[60:63], 0 offset:400 ; 4-byte Folded Reload
	;; [unrolled: 1-line block ×16, first 2 shown]
	v_add_f64 v[100:101], v[128:129], v[100:101]
	v_mul_f64 v[128:129], v[223:224], s[22:23]
	s_waitcnt vmcnt(14)
	v_add_f64 v[6:7], v[6:7], v[134:135]
	s_waitcnt vmcnt(12)
	v_add_f64 v[140:141], v[152:153], v[140:141]
	v_mul_f64 v[152:153], v[221:222], s[4:5]
	s_waitcnt vmcnt(10)
	v_add_f64 v[12:13], v[142:143], -v[12:13]
	v_mul_f64 v[134:135], v[221:222], s[22:23]
	s_waitcnt vmcnt(4)
	v_add_f64 v[26:27], v[26:27], v[66:67]
	s_waitcnt vmcnt(2)
	v_add_f64 v[28:29], v[64:65], -v[28:29]
	s_waitcnt vmcnt(0)
	v_add_f64 v[30:31], v[84:85], -v[30:31]
	buffer_load_dword v64, off, s[60:63], 0 offset:76 ; 4-byte Folded Reload
	buffer_load_dword v65, off, s[60:63], 0 offset:80 ; 4-byte Folded Reload
	;; [unrolled: 1-line block ×4, first 2 shown]
	v_add_f64 v[100:101], v[6:7], v[100:101]
	v_add_f64 v[6:7], v[16:17], v[4:5]
	;; [unrolled: 1-line block ×4, first 2 shown]
	buffer_load_dword v26, off, s[60:63], 0 offset:580 ; 4-byte Folded Reload
	buffer_load_dword v27, off, s[60:63], 0 offset:584 ; 4-byte Folded Reload
	v_add_f64 v[28:29], v[20:21], v[28:29]
	v_add_f64 v[20:21], v[20:21], v[30:31]
	buffer_load_dword v30, off, s[60:63], 0 offset:164 ; 4-byte Folded Reload
	buffer_load_dword v31, off, s[60:63], 0 offset:168 ; 4-byte Folded Reload
	;; [unrolled: 1-line block ×6, first 2 shown]
	v_add_f64 v[4:5], v[229:230], v[98:99]
	v_add_f64 v[96:97], v[96:97], v[148:149]
	;; [unrolled: 1-line block ×3, first 2 shown]
	v_add_f64 v[24:25], v[150:151], -v[24:25]
	v_add_f64 v[12:13], v[12:13], v[16:17]
	v_add_f64 v[16:17], v[213:214], v[154:155]
	v_add_f64 v[100:101], v[156:157], -v[227:228]
	v_add_f64 v[66:67], v[96:97], v[98:99]
	v_add_f64 v[12:13], v[24:25], v[12:13]
	s_waitcnt vmcnt(10)
	v_add_f64 v[64:65], v[90:91], -v[64:65]
	s_waitcnt vmcnt(8)
	v_add_f64 v[84:85], v[84:85], v[106:107]
	s_waitcnt vmcnt(6)
	v_add_f64 v[26:27], v[104:105], -v[26:27]
	v_add_f64 v[20:21], v[64:65], v[20:21]
	v_add_f64 v[22:23], v[84:85], v[22:23]
	s_waitcnt vmcnt(2)
	v_add_f64 v[40:41], v[40:41], v[116:117]
	v_add_f64 v[30:31], v[118:119], -v[30:31]
	s_waitcnt vmcnt(0)
	v_add_f64 v[42:43], v[112:113], -v[42:43]
	v_add_f64 v[26:27], v[26:27], v[28:29]
	buffer_load_dword v28, off, s[60:63], 0 offset:236 ; 4-byte Folded Reload
	buffer_load_dword v29, off, s[60:63], 0 offset:240 ; 4-byte Folded Reload
	;; [unrolled: 1-line block ×4, first 2 shown]
	v_add_f64 v[22:23], v[40:41], v[22:23]
	buffer_load_dword v40, off, s[60:63], 0 offset:188 ; 4-byte Folded Reload
	buffer_load_dword v41, off, s[60:63], 0 offset:192 ; 4-byte Folded Reload
	v_add_f64 v[20:21], v[30:31], v[20:21]
	buffer_load_dword v30, off, s[60:63], 0 offset:292 ; 4-byte Folded Reload
	buffer_load_dword v31, off, s[60:63], 0 offset:296 ; 4-byte Folded Reload
	;; [unrolled: 1-line block ×6, first 2 shown]
	v_add_f64 v[26:27], v[42:43], v[26:27]
	s_waitcnt vmcnt(10)
	v_add_f64 v[28:29], v[126:127], -v[28:29]
	s_waitcnt vmcnt(8)
	v_add_f64 v[44:45], v[44:45], v[124:125]
	s_waitcnt vmcnt(6)
	v_add_f64 v[40:41], v[122:123], -v[40:41]
	s_waitcnt vmcnt(4)
	v_add_f64 v[30:31], v[132:133], -v[30:31]
	s_waitcnt vmcnt(2)
	v_add_f64 v[32:33], v[32:33], v[110:111]
	v_add_f64 v[20:21], v[28:29], v[20:21]
	buffer_load_dword v28, off, s[60:63], 0 offset:364 ; 4-byte Folded Reload
	buffer_load_dword v29, off, s[60:63], 0 offset:368 ; 4-byte Folded Reload
	;; [unrolled: 1-line block ×4, first 2 shown]
	v_add_f64 v[22:23], v[44:45], v[22:23]
	s_waitcnt vmcnt(4)
	v_add_f64 v[34:35], v[130:131], -v[34:35]
	v_add_f64 v[26:27], v[40:41], v[26:27]
	v_add_f64 v[20:21], v[30:31], v[20:21]
	v_add_f64 v[22:23], v[32:33], v[22:23]
	buffer_load_dword v32, off, s[60:63], 0 offset:332 ; 4-byte Folded Reload
	buffer_load_dword v33, off, s[60:63], 0 offset:336 ; 4-byte Folded Reload
	v_add_f64 v[26:27], v[34:35], v[26:27]
	buffer_load_dword v30, off, s[60:63], 0 offset:476 ; 4-byte Folded Reload
	buffer_load_dword v31, off, s[60:63], 0 offset:480 ; 4-byte Folded Reload
	;; [unrolled: 1-line block ×4, first 2 shown]
	s_waitcnt vmcnt(8)
	v_add_f64 v[28:29], v[138:139], -v[28:29]
	s_waitcnt vmcnt(6)
	v_add_f64 v[36:37], v[36:37], v[114:115]
	v_add_f64 v[20:21], v[28:29], v[20:21]
	v_add_f64 v[22:23], v[36:37], v[22:23]
	buffer_load_dword v36, off, s[60:63], 0 offset:444 ; 4-byte Folded Reload
	buffer_load_dword v37, off, s[60:63], 0 offset:448 ; 4-byte Folded Reload
	;; [unrolled: 1-line block ×4, first 2 shown]
	s_waitcnt vmcnt(8)
	v_add_f64 v[32:33], v[108:109], -v[32:33]
	s_waitcnt vmcnt(6)
	v_add_f64 v[30:31], v[146:147], -v[30:31]
	s_waitcnt vmcnt(4)
	v_add_f64 v[34:35], v[34:35], v[144:145]
	v_add_f64 v[26:27], v[32:33], v[26:27]
	;; [unrolled: 1-line block ×6, first 2 shown]
	s_waitcnt vmcnt(2)
	v_add_f64 v[36:37], v[120:121], -v[36:37]
	s_waitcnt vmcnt(0)
	v_add_f64 v[38:39], v[152:153], -v[28:29]
	buffer_load_dword v28, off, s[60:63], 0 offset:524 ; 4-byte Folded Reload
	buffer_load_dword v29, off, s[60:63], 0 offset:528 ; 4-byte Folded Reload
	;; [unrolled: 1-line block ×4, first 2 shown]
	v_add_f64 v[36:37], v[36:37], v[26:27]
	v_add_f64 v[26:27], v[16:17], v[66:67]
	;; [unrolled: 1-line block ×4, first 2 shown]
	s_waitcnt vmcnt(2)
	v_add_f64 v[28:29], v[28:29], v[128:129]
	s_waitcnt vmcnt(0)
	v_add_f64 v[40:41], v[134:135], -v[22:23]
	v_add_f64 v[22:23], v[4:5], v[18:19]
	v_add_f64 v[4:5], v[88:89], v[86:87]
	;; [unrolled: 1-line block ×5, first 2 shown]
	v_mul_lo_u16_e32 v8, 17, v184
	v_add_lshl_u32 v8, v212, v8, 4
	ds_write_b128 v8, v[32:35]
	ds_write_b128 v8, v[28:31] offset:16
	ds_write_b128 v8, v[24:27] offset:32
	;; [unrolled: 1-line block ×11, first 2 shown]
	buffer_load_dword v0, off, s[60:63], 0 offset:40 ; 4-byte Folded Reload
	buffer_load_dword v1, off, s[60:63], 0 offset:44 ; 4-byte Folded Reload
	buffer_load_dword v2, off, s[60:63], 0 offset:48 ; 4-byte Folded Reload
	buffer_load_dword v3, off, s[60:63], 0 offset:52 ; 4-byte Folded Reload
	s_waitcnt vmcnt(0)
	ds_write_b128 v8, v[0:3] offset:192
	buffer_load_dword v0, off, s[60:63], 0 offset:24 ; 4-byte Folded Reload
	buffer_load_dword v1, off, s[60:63], 0 offset:28 ; 4-byte Folded Reload
	buffer_load_dword v2, off, s[60:63], 0 offset:32 ; 4-byte Folded Reload
	buffer_load_dword v3, off, s[60:63], 0 offset:36 ; 4-byte Folded Reload
	s_waitcnt vmcnt(0)
	ds_write_b128 v8, v[0:3] offset:208
	;; [unrolled: 6-line block ×3, first 2 shown]
	ds_write_b128 v8, v[202:205] offset:240
	ds_write_b128 v8, v[198:201] offset:256
.LBB0_7:
	s_or_b64 exec, exec, s[28:29]
	s_movk_i32 s16, 0xcc
	s_load_dwordx4 s[4:7], s[0:1], 0x0
	v_add_co_u32_e64 v0, s[0:1], s16, v184
	s_movk_i32 s0, 0x132
	v_add_co_u32_e64 v2, s[0:1], s0, v184
	s_movk_i32 s0, 0xf1
	v_mul_lo_u16_sdwa v1, v184, s0 dst_sel:DWORD dst_unused:UNUSED_PAD src0_sel:BYTE_0 src1_sel:DWORD
	v_lshrrev_b16_e32 v23, 12, v1
	v_mul_lo_u16_e32 v1, 17, v23
	v_sub_u16_e32 v24, v184, v1
	v_mov_b32_e32 v3, 5
	v_lshlrev_b32_sdwa v1, v3, v24 dst_sel:DWORD dst_unused:UNUSED_PAD src0_sel:DWORD src1_sel:BYTE_0
	s_waitcnt lgkmcnt(0)
	s_barrier
	global_load_dwordx4 v[34:37], v1, s[2:3] offset:16
	global_load_dwordx4 v[38:41], v1, s[2:3]
	v_add_u16_e32 v1, 0x66, v184
	v_mul_lo_u16_sdwa v4, v1, s0 dst_sel:DWORD dst_unused:UNUSED_PAD src0_sel:BYTE_0 src1_sel:DWORD
	v_lshrrev_b16_e32 v25, 12, v4
	v_mul_lo_u16_e32 v4, 17, v25
	v_sub_u16_e32 v26, v1, v4
	v_lshlrev_b32_sdwa v3, v3, v26 dst_sel:DWORD dst_unused:UNUSED_PAD src0_sel:DWORD src1_sel:BYTE_0
	s_mov_b32 s0, 0xf0f1
	global_load_dwordx4 v[42:45], v3, s[2:3] offset:16
	global_load_dwordx4 v[46:49], v3, s[2:3]
	v_mul_u32_u24_sdwa v3, v0, s0 dst_sel:DWORD dst_unused:UNUSED_PAD src0_sel:WORD_0 src1_sel:DWORD
	v_lshrrev_b32_e32 v27, 20, v3
	v_mul_lo_u16_e32 v3, 17, v27
	v_sub_u16_e32 v28, v0, v3
	v_lshlrev_b16_e32 v3, 1, v28
	v_lshlrev_b32_e32 v3, 4, v3
	global_load_dwordx4 v[186:189], v3, s[2:3] offset:16
	global_load_dwordx4 v[191:194], v3, s[2:3]
	v_mul_u32_u24_sdwa v3, v2, s0 dst_sel:DWORD dst_unused:UNUSED_PAD src0_sel:WORD_0 src1_sel:DWORD
	v_lshrrev_b32_e32 v29, 20, v3
	v_mul_lo_u16_e32 v3, 17, v29
	v_sub_u16_e32 v30, v2, v3
	v_lshlrev_b16_e32 v2, 1, v30
	v_lshlrev_b32_e32 v2, 4, v2
	global_load_dwordx4 v[213:216], v2, s[2:3]
	global_load_dwordx4 v[206:209], v2, s[2:3] offset:16
	v_add_lshl_u32 v6, v212, v184, 4
	ds_read_b128 v[2:5], v6
	ds_read_b128 v[52:55], v6 offset:1632
	ds_read_b128 v[56:59], v6 offset:6528
	;; [unrolled: 1-line block ×11, first 2 shown]
	s_mov_b32 s8, 0xe8584caa
	s_mov_b32 s9, 0x3febb67a
	;; [unrolled: 1-line block ×4, first 2 shown]
	s_waitcnt vmcnt(0) lgkmcnt(0)
	s_barrier
	v_cmp_gt_u16_e64 s[0:1], 51, v184
	v_mul_f64 v[11:12], v[66:67], v[36:37]
	v_mul_f64 v[7:8], v[58:59], v[40:41]
	;; [unrolled: 1-line block ×4, first 2 shown]
	v_fma_f64 v[11:12], v[64:65], v[34:35], -v[11:12]
	v_mul_f64 v[15:16], v[62:63], v[48:49]
	v_mul_f64 v[17:18], v[60:61], v[48:49]
	v_fma_f64 v[7:8], v[56:57], v[38:39], -v[7:8]
	v_fma_f64 v[9:10], v[58:59], v[38:39], v[9:10]
	v_fma_f64 v[13:14], v[66:67], v[34:35], v[13:14]
	v_mul_f64 v[19:20], v[70:71], v[44:45]
	v_mul_f64 v[100:101], v[90:91], v[188:189]
	v_mul_f64 v[96:97], v[82:83], v[193:194]
	v_mul_f64 v[21:22], v[68:69], v[44:45]
	v_mul_f64 v[98:99], v[80:81], v[193:194]
	v_mul_f64 v[102:103], v[88:89], v[188:189]
	v_fma_f64 v[15:16], v[60:61], v[46:47], -v[15:16]
	v_fma_f64 v[17:18], v[62:63], v[46:47], v[17:18]
	v_mul_f64 v[104:105], v[86:87], v[215:216]
	v_fma_f64 v[88:89], v[88:89], v[186:187], -v[100:101]
	v_fma_f64 v[96:97], v[80:81], v[191:192], -v[96:97]
	v_add_f64 v[58:59], v[7:8], v[11:12]
	v_add_f64 v[60:61], v[9:10], -v[13:14]
	v_add_f64 v[62:63], v[4:5], v[9:10]
	v_add_f64 v[9:10], v[9:10], v[13:14]
	v_mul_f64 v[106:107], v[84:85], v[215:216]
	v_mul_f64 v[110:111], v[92:93], v[208:209]
	v_fma_f64 v[19:20], v[68:69], v[42:43], -v[19:20]
	v_fma_f64 v[21:22], v[70:71], v[42:43], v[21:22]
	v_fma_f64 v[82:83], v[82:83], v[191:192], v[98:99]
	;; [unrolled: 1-line block ×3, first 2 shown]
	v_fma_f64 v[98:99], v[84:85], v[213:214], -v[104:105]
	v_add_f64 v[56:57], v[2:3], v[7:8]
	v_add_f64 v[7:8], v[7:8], -v[11:12]
	v_fma_f64 v[58:59], v[58:59], -0.5, v[2:3]
	v_add_f64 v[84:85], v[96:97], v[88:89]
	v_fma_f64 v[9:10], v[9:10], -0.5, v[4:5]
	v_mul_f64 v[108:109], v[94:95], v[208:209]
	v_fma_f64 v[86:87], v[86:87], v[213:214], v[106:107]
	v_fma_f64 v[94:95], v[94:95], v[206:207], v[110:111]
	v_add_f64 v[66:67], v[15:16], v[19:20]
	v_add_f64 v[68:69], v[17:18], -v[21:22]
	v_add_f64 v[70:71], v[54:55], v[17:18]
	v_add_f64 v[17:18], v[17:18], v[21:22]
	;; [unrolled: 1-line block ×5, first 2 shown]
	v_fma_f64 v[56:57], v[60:61], s[8:9], v[58:59]
	v_fma_f64 v[60:61], v[60:61], s[10:11], v[58:59]
	;; [unrolled: 1-line block ×4, first 2 shown]
	v_fma_f64 v[7:8], v[84:85], -0.5, v[72:73]
	v_add_f64 v[9:10], v[82:83], -v[90:91]
	v_fma_f64 v[92:93], v[92:93], v[206:207], -v[108:109]
	v_add_f64 v[64:65], v[52:53], v[15:16]
	v_add_f64 v[15:16], v[15:16], -v[19:20]
	v_fma_f64 v[11:12], v[66:67], -0.5, v[52:53]
	v_fma_f64 v[13:14], v[17:18], -0.5, v[54:55]
	v_add_f64 v[72:73], v[80:81], v[88:89]
	v_add_f64 v[54:55], v[70:71], v[21:22]
	v_fma_f64 v[80:81], v[9:10], s[8:9], v[7:8]
	v_fma_f64 v[84:85], v[9:10], s[10:11], v[7:8]
	v_add_f64 v[7:8], v[86:87], v[94:95]
	v_add_f64 v[52:53], v[64:65], v[19:20]
	v_fma_f64 v[64:65], v[68:69], s[8:9], v[11:12]
	v_fma_f64 v[68:69], v[68:69], s[10:11], v[11:12]
	;; [unrolled: 1-line block ×3, first 2 shown]
	v_add_f64 v[11:12], v[82:83], v[90:91]
	v_fma_f64 v[70:71], v[15:16], s[8:9], v[13:14]
	v_add_f64 v[9:10], v[74:75], v[82:83]
	v_add_f64 v[15:16], v[96:97], -v[88:89]
	v_add_f64 v[21:22], v[78:79], v[86:87]
	v_fma_f64 v[7:8], v[7:8], -0.5, v[78:79]
	v_add_f64 v[96:97], v[98:99], -v[92:93]
	v_add_f64 v[13:14], v[98:99], v[92:93]
	v_fma_f64 v[11:12], v[11:12], -0.5, v[74:75]
	v_add_f64 v[19:20], v[86:87], -v[94:95]
	v_add_f64 v[74:75], v[9:10], v[90:91]
	v_add_f64 v[17:18], v[76:77], v[98:99]
	;; [unrolled: 1-line block ×3, first 2 shown]
	v_mov_b32_e32 v22, s3
	v_fma_f64 v[90:91], v[96:97], s[10:11], v[7:8]
	v_fma_f64 v[94:95], v[96:97], s[8:9], v[7:8]
	v_mul_u32_u24_e32 v7, 51, v23
	v_add_u32_sdwa v7, v7, v24 dst_sel:DWORD dst_unused:UNUSED_PAD src0_sel:DWORD src1_sel:BYTE_0
	v_add_lshl_u32 v195, v212, v7, 4
	v_fma_f64 v[13:14], v[13:14], -0.5, v[76:77]
	ds_write_b128 v195, v[2:5]
	ds_write_b128 v195, v[56:59] offset:272
	ds_write_b128 v195, v[60:63] offset:544
	v_mul_u32_u24_e32 v2, 51, v25
	v_add_u32_sdwa v2, v2, v26 dst_sel:DWORD dst_unused:UNUSED_PAD src0_sel:DWORD src1_sel:BYTE_0
	v_add_lshl_u32 v56, v212, v2, 4
	v_mad_legacy_u16 v2, v27, 51, v28
	ds_write_b128 v56, v[52:55]
	ds_write_b128 v56, v[64:67] offset:272
	ds_write_b128 v56, v[68:71] offset:544
	v_add_lshl_u32 v52, v212, v2, 4
	v_mad_legacy_u16 v2, v29, 51, v30
	v_add_lshl_u32 v53, v212, v2, 4
	v_subrev_u32_e32 v2, 51, v184
	v_cndmask_b32_e64 v23, v2, v184, s[0:1]
	v_mul_i32_i24_e32 v2, 48, v23
	v_add_f64 v[76:77], v[17:18], v[92:93]
	v_mul_hi_i32_i24_e32 v3, 48, v23
	v_mov_b32_e32 v7, s3
	v_add_co_u32_e64 v2, s[0:1], s2, v2
	v_fma_f64 v[82:83], v[15:16], s[10:11], v[11:12]
	v_fma_f64 v[88:89], v[19:20], s[8:9], v[13:14]
	v_addc_co_u32_e64 v3, s[0:1], v7, v3, s[0:1]
	v_fma_f64 v[86:87], v[15:16], s[8:9], v[11:12]
	v_fma_f64 v[92:93], v[19:20], s[10:11], v[13:14]
	s_movk_i32 s0, 0xa1
	v_mul_lo_u16_sdwa v4, v1, s0 dst_sel:DWORD dst_unused:UNUSED_PAD src0_sel:BYTE_0 src1_sel:DWORD
	v_lshrrev_b16_e32 v24, 13, v4
	v_mul_lo_u16_e32 v4, 51, v24
	v_sub_u16_e32 v1, v1, v4
	v_and_b32_e32 v25, 0xff, v1
	ds_write_b128 v52, v[72:75]
	ds_write_b128 v52, v[80:83] offset:272
	ds_write_b128 v52, v[84:87] offset:544
	ds_write_b128 v53, v[76:79]
	ds_write_b128 v53, v[88:91] offset:272
	ds_write_b128 v53, v[92:95] offset:544
	s_waitcnt lgkmcnt(0)
	s_barrier
	global_load_dwordx4 v[60:63], v[2:3], off offset:560
	global_load_dwordx4 v[64:67], v[2:3], off offset:544
	v_mad_u64_u32 v[4:5], s[0:1], v25, 48, s[2:3]
	global_load_dwordx4 v[68:71], v[2:3], off offset:576
	global_load_dwordx4 v[84:87], v[4:5], off offset:544
	;; [unrolled: 1-line block ×4, first 2 shown]
	s_mov_b32 s0, 0xa0a1
	v_mul_u32_u24_sdwa v1, v0, s0 dst_sel:DWORD dst_unused:UNUSED_PAD src0_sel:WORD_0 src1_sel:DWORD
	v_lshrrev_b32_e32 v26, 21, v1
	v_mul_lo_u16_e32 v1, 51, v26
	v_sub_u16_e32 v27, v0, v1
	v_mul_lo_u16_e32 v0, 48, v27
	v_add_co_u32_e64 v0, s[0:1], s2, v0
	v_addc_co_u32_e64 v1, s[0:1], 0, v7, s[0:1]
	global_load_dwordx4 v[225:228], v[0:1], off offset:544
	global_load_dwordx4 v[221:224], v[0:1], off offset:560
	;; [unrolled: 1-line block ×3, first 2 shown]
	ds_read_b128 v[0:3], v6
	ds_read_b128 v[88:91], v6 offset:1632
	ds_read_b128 v[92:95], v6 offset:9792
	;; [unrolled: 1-line block ×11, first 2 shown]
	v_cmp_lt_u16_e64 s[0:1], 50, v184
	s_waitcnt vmcnt(0) lgkmcnt(0)
	s_barrier
	v_mov_b32_e32 v21, s2
	v_mul_f64 v[9:10], v[94:95], v[62:63]
	v_mul_f64 v[4:5], v[102:103], v[66:67]
	;; [unrolled: 1-line block ×8, first 2 shown]
	v_fma_f64 v[9:10], v[92:93], v[60:61], -v[9:10]
	v_fma_f64 v[4:5], v[100:101], v[64:65], -v[4:5]
	v_fma_f64 v[7:8], v[102:103], v[64:65], v[7:8]
	v_fma_f64 v[11:12], v[94:95], v[60:61], v[11:12]
	v_fma_f64 v[13:14], v[116:117], v[68:69], -v[13:14]
	v_fma_f64 v[15:16], v[118:119], v[68:69], v[15:16]
	v_mul_f64 v[92:93], v[98:99], v[82:83]
	v_mul_f64 v[94:95], v[96:97], v[82:83]
	v_add_f64 v[9:10], v[0:1], -v[9:10]
	v_fma_f64 v[17:18], v[108:109], v[84:85], -v[17:18]
	v_fma_f64 v[19:20], v[110:111], v[84:85], v[19:20]
	v_add_f64 v[11:12], v[2:3], -v[11:12]
	v_add_f64 v[13:14], v[4:5], -v[13:14]
	;; [unrolled: 1-line block ×3, first 2 shown]
	v_mul_f64 v[100:101], v[126:127], v[78:79]
	v_mul_f64 v[102:103], v[124:125], v[78:79]
	v_fma_f64 v[108:109], v[96:97], v[80:81], -v[92:93]
	v_fma_f64 v[110:111], v[98:99], v[80:81], v[94:95]
	v_fma_f64 v[92:93], v[0:1], 2.0, -v[9:10]
	v_fma_f64 v[94:95], v[2:3], 2.0, -v[11:12]
	;; [unrolled: 1-line block ×4, first 2 shown]
	v_mul_f64 v[4:5], v[114:115], v[227:228]
	v_mul_f64 v[7:8], v[112:113], v[227:228]
	;; [unrolled: 1-line block ×6, first 2 shown]
	v_fma_f64 v[100:101], v[124:125], v[76:77], -v[100:101]
	v_fma_f64 v[102:103], v[126:127], v[76:77], v[102:103]
	v_fma_f64 v[4:5], v[112:113], v[225:226], -v[4:5]
	v_fma_f64 v[7:8], v[114:115], v[225:226], v[7:8]
	;; [unrolled: 2-line block ×4, first 2 shown]
	v_add_f64 v[96:97], v[9:10], -v[15:16]
	v_add_f64 v[98:99], v[11:12], v[13:14]
	v_add_f64 v[13:14], v[88:89], -v[108:109]
	v_add_f64 v[15:16], v[90:91], -v[110:111]
	;; [unrolled: 1-line block ×8, first 2 shown]
	v_fma_f64 v[116:117], v[88:89], 2.0, -v[13:14]
	v_fma_f64 v[118:119], v[90:91], 2.0, -v[15:16]
	;; [unrolled: 1-line block ×8, first 2 shown]
	v_add_f64 v[0:1], v[92:93], -v[0:1]
	v_add_f64 v[2:3], v[94:95], -v[2:3]
	v_add_f64 v[100:101], v[116:117], -v[17:18]
	v_add_f64 v[102:103], v[118:119], -v[19:20]
	v_add_f64 v[104:105], v[13:14], -v[110:111]
	v_add_f64 v[106:107], v[15:16], v[108:109]
	v_add_f64 v[108:109], v[124:125], -v[4:5]
	v_add_f64 v[110:111], v[126:127], -v[7:8]
	v_fma_f64 v[92:93], v[92:93], 2.0, -v[0:1]
	v_fma_f64 v[94:95], v[94:95], 2.0, -v[2:3]
	v_add_f64 v[112:113], v[128:129], -v[112:113]
	v_add_f64 v[114:115], v[130:131], v[114:115]
	v_fma_f64 v[88:89], v[9:10], 2.0, -v[96:97]
	v_fma_f64 v[90:91], v[11:12], 2.0, -v[98:99]
	v_mov_b32_e32 v4, 0xcc
	v_cndmask_b32_e64 v4, 0, v4, s[0:1]
	v_add_u32_e32 v4, v23, v4
	v_fma_f64 v[116:117], v[116:117], 2.0, -v[100:101]
	v_fma_f64 v[118:119], v[118:119], 2.0, -v[102:103]
	;; [unrolled: 1-line block ×4, first 2 shown]
	v_add_lshl_u32 v72, v212, v4, 4
	v_fma_f64 v[120:121], v[13:14], 2.0, -v[104:105]
	v_fma_f64 v[122:123], v[15:16], 2.0, -v[106:107]
	;; [unrolled: 1-line block ×4, first 2 shown]
	ds_write_b128 v72, v[92:95]
	ds_write_b128 v72, v[88:91] offset:816
	ds_write_b128 v72, v[0:3] offset:1632
	;; [unrolled: 1-line block ×3, first 2 shown]
	v_mul_u32_u24_e32 v0, 0xcc, v24
	v_add_u32_e32 v0, v0, v25
	v_add_lshl_u32 v73, v212, v0, 4
	v_mad_legacy_u16 v0, v26, s16, v27
	s_movk_i32 s0, 0x50
	v_add_lshl_u32 v255, v212, v0, 4
	v_mad_u64_u32 v[0:1], s[0:1], v184, s0, v[21:22]
	ds_write_b128 v73, v[116:119]
	ds_write_b128 v73, v[120:123] offset:816
	ds_write_b128 v73, v[100:103] offset:1632
	;; [unrolled: 1-line block ×3, first 2 shown]
	ds_write_b128 v255, v[124:127]
	ds_write_b128 v255, v[128:131] offset:816
	ds_write_b128 v255, v[108:111] offset:1632
	;; [unrolled: 1-line block ×3, first 2 shown]
	s_waitcnt lgkmcnt(0)
	s_barrier
	global_load_dwordx4 v[104:107], v[0:1], off offset:2992
	global_load_dwordx4 v[98:101], v[0:1], off offset:3008
	;; [unrolled: 1-line block ×5, first 2 shown]
	s_movk_i32 s0, 0x1fe0
	v_add_co_u32_e64 v0, s[0:1], s0, v0
	v_addc_co_u32_e64 v1, s[0:1], 0, v1, s[0:1]
	global_load_dwordx4 v[124:127], v[0:1], off offset:2992
	global_load_dwordx4 v[120:123], v[0:1], off offset:3008
	;; [unrolled: 1-line block ×5, first 2 shown]
	ds_read_b128 v[0:3], v6
	ds_read_b128 v[150:153], v6 offset:1632
	ds_read_b128 v[128:131], v6 offset:3264
	;; [unrolled: 1-line block ×11, first 2 shown]
	v_lshl_add_u32 v212, v184, 4, v185
	s_waitcnt vmcnt(9) lgkmcnt(9)
	v_mul_f64 v[4:5], v[130:131], v[106:107]
	v_mul_f64 v[7:8], v[128:129], v[106:107]
	s_waitcnt vmcnt(8) lgkmcnt(7)
	v_mul_f64 v[9:10], v[138:139], v[100:101]
	v_mul_f64 v[11:12], v[136:137], v[100:101]
	;; [unrolled: 3-line block ×4, first 2 shown]
	v_fma_f64 v[4:5], v[128:129], v[104:105], -v[4:5]
	s_waitcnt vmcnt(5) lgkmcnt(1)
	v_mul_f64 v[128:129], v[166:167], v[114:115]
	v_fma_f64 v[7:8], v[130:131], v[104:105], v[7:8]
	v_fma_f64 v[9:10], v[136:137], v[98:99], -v[9:10]
	v_fma_f64 v[11:12], v[138:139], v[98:99], v[11:12]
	v_mul_f64 v[21:22], v[168:169], v[114:115]
	v_fma_f64 v[15:16], v[146:147], v[94:95], v[15:16]
	s_waitcnt vmcnt(4)
	v_mul_f64 v[130:131], v[134:135], v[126:127]
	v_mul_f64 v[136:137], v[132:133], v[126:127]
	s_waitcnt vmcnt(3)
	v_mul_f64 v[138:139], v[142:143], v[122:123]
	v_fma_f64 v[128:129], v[168:169], v[112:113], v[128:129]
	v_fma_f64 v[13:14], v[144:145], v[94:95], -v[13:14]
	v_fma_f64 v[17:18], v[158:159], v[229:230], -v[17:18]
	v_fma_f64 v[19:20], v[160:161], v[229:230], v[19:20]
	v_fma_f64 v[21:22], v[166:167], v[112:113], -v[21:22]
	s_waitcnt vmcnt(2)
	v_mul_f64 v[146:147], v[156:157], v[118:119]
	v_fma_f64 v[158:159], v[132:133], v[124:125], -v[130:131]
	v_mul_f64 v[130:131], v[154:155], v[118:119]
	v_fma_f64 v[160:161], v[134:135], v[124:125], v[136:137]
	v_fma_f64 v[166:167], v[140:141], v[120:121], -v[138:139]
	s_waitcnt vmcnt(1)
	v_mul_f64 v[132:133], v[164:165], v[110:111]
	v_mul_f64 v[134:135], v[162:163], v[110:111]
	v_add_f64 v[138:139], v[15:16], v[128:129]
	v_mul_f64 v[144:145], v[140:141], v[122:123]
	v_fma_f64 v[146:147], v[154:155], v[116:117], -v[146:147]
	v_add_f64 v[136:137], v[9:10], v[17:18]
	v_fma_f64 v[154:155], v[156:157], v[116:117], v[130:131]
	v_add_f64 v[130:131], v[13:14], v[21:22]
	v_fma_f64 v[156:157], v[162:163], v[108:109], -v[132:133]
	v_fma_f64 v[162:163], v[164:165], v[108:109], v[134:135]
	v_add_f64 v[134:135], v[0:1], v[9:10]
	v_fma_f64 v[138:139], v[138:139], -0.5, v[7:8]
	v_add_f64 v[140:141], v[13:14], -v[21:22]
	v_fma_f64 v[168:169], v[142:143], v[120:121], v[144:145]
	s_waitcnt vmcnt(0) lgkmcnt(0)
	v_mul_f64 v[132:133], v[172:173], v[92:93]
	v_fma_f64 v[0:1], v[136:137], -0.5, v[0:1]
	v_add_f64 v[136:137], v[11:12], -v[19:20]
	v_fma_f64 v[130:131], v[130:131], -0.5, v[4:5]
	v_add_f64 v[142:143], v[15:16], -v[128:129]
	v_add_f64 v[144:145], v[11:12], v[19:20]
	v_add_f64 v[148:149], v[134:135], v[17:18]
	v_fma_f64 v[134:135], v[140:141], s[10:11], v[138:139]
	v_add_f64 v[11:12], v[2:3], v[11:12]
	v_fma_f64 v[138:139], v[140:141], s[8:9], v[138:139]
	v_fma_f64 v[164:165], v[170:171], v[90:91], -v[132:133]
	v_mul_f64 v[132:133], v[170:171], v[92:93]
	v_fma_f64 v[170:171], v[136:137], s[8:9], v[0:1]
	v_fma_f64 v[0:1], v[136:137], s[10:11], v[0:1]
	;; [unrolled: 1-line block ×3, first 2 shown]
	v_fma_f64 v[2:3], v[144:145], -0.5, v[2:3]
	v_add_f64 v[9:10], v[9:10], -v[17:18]
	v_add_f64 v[11:12], v[11:12], v[19:20]
	v_mul_f64 v[19:20], v[138:139], -0.5
	v_fma_f64 v[130:131], v[142:143], s[8:9], v[130:131]
	v_add_f64 v[4:5], v[4:5], v[13:14]
	v_mul_f64 v[13:14], v[134:135], s[8:9]
	v_mul_f64 v[17:18], v[136:137], -0.5
	v_add_f64 v[7:8], v[7:8], v[15:16]
	v_fma_f64 v[174:175], v[9:10], s[10:11], v[2:3]
	v_fma_f64 v[2:3], v[9:10], s[8:9], v[2:3]
	;; [unrolled: 1-line block ×4, first 2 shown]
	v_add_f64 v[4:5], v[4:5], v[21:22]
	v_fma_f64 v[13:14], v[130:131], 0.5, v[13:14]
	v_fma_f64 v[17:18], v[138:139], s[8:9], v[17:18]
	v_add_f64 v[21:22], v[166:167], v[156:157]
	v_add_f64 v[142:143], v[146:147], v[164:165]
	;; [unrolled: 1-line block ×3, first 2 shown]
	v_mul_f64 v[15:16], v[130:131], s[10:11]
	v_add_f64 v[172:173], v[154:155], v[19:20]
	v_add_f64 v[128:129], v[148:149], v[4:5]
	v_add_f64 v[132:133], v[170:171], v[13:14]
	v_add_f64 v[136:137], v[0:1], v[17:18]
	v_add_f64 v[140:141], v[148:149], -v[4:5]
	v_add_f64 v[144:145], v[170:171], -v[13:14]
	;; [unrolled: 1-line block ×3, first 2 shown]
	v_add_f64 v[0:1], v[150:151], v[166:167]
	v_fma_f64 v[4:5], v[21:22], -0.5, v[150:151]
	v_add_f64 v[13:14], v[168:169], -v[162:163]
	v_fma_f64 v[17:18], v[142:143], -0.5, v[158:159]
	v_fma_f64 v[21:22], v[172:173], -0.5, v[160:161]
	v_add_f64 v[150:151], v[146:147], -v[164:165]
	v_add_f64 v[170:171], v[154:155], -v[19:20]
	v_add_f64 v[130:131], v[11:12], v[7:8]
	v_add_f64 v[172:173], v[168:169], v[162:163]
	v_add_f64 v[142:143], v[11:12], -v[7:8]
	v_fma_f64 v[7:8], v[13:14], s[8:9], v[4:5]
	v_add_f64 v[11:12], v[152:153], v[168:169]
	v_fma_f64 v[4:5], v[13:14], s[10:11], v[4:5]
	v_fma_f64 v[13:14], v[150:151], s[10:11], v[21:22]
	;; [unrolled: 1-line block ×5, first 2 shown]
	v_add_f64 v[0:1], v[0:1], v[156:157]
	v_fma_f64 v[152:153], v[172:173], -0.5, v[152:153]
	v_add_f64 v[150:151], v[166:167], -v[156:157]
	v_add_f64 v[11:12], v[11:12], v[162:163]
	v_add_f64 v[146:147], v[158:159], v[146:147]
	v_mul_f64 v[156:157], v[13:14], s[8:9]
	v_mul_f64 v[158:159], v[168:169], -0.5
	v_add_f64 v[154:155], v[160:161], v[154:155]
	v_mul_f64 v[160:161], v[17:18], s[10:11]
	v_mul_f64 v[162:163], v[21:22], -0.5
	v_fma_f64 v[15:16], v[134:135], 0.5, v[15:16]
	v_fma_f64 v[170:171], v[150:151], s[10:11], v[152:153]
	v_fma_f64 v[176:177], v[150:151], s[8:9], v[152:153]
	v_add_f64 v[164:165], v[146:147], v[164:165]
	v_fma_f64 v[17:18], v[17:18], 0.5, v[156:157]
	v_fma_f64 v[21:22], v[21:22], s[8:9], v[158:159]
	v_add_f64 v[19:20], v[154:155], v[19:20]
	v_fma_f64 v[13:14], v[13:14], 0.5, v[160:161]
	v_fma_f64 v[178:179], v[168:169], s[10:11], v[162:163]
	v_add_f64 v[134:135], v[174:175], v[15:16]
	v_add_f64 v[138:139], v[2:3], v[9:10]
	v_add_f64 v[146:147], v[174:175], -v[15:16]
	v_add_f64 v[150:151], v[2:3], -v[9:10]
	v_add_f64 v[152:153], v[0:1], v[164:165]
	v_add_f64 v[156:157], v[7:8], v[17:18]
	;; [unrolled: 1-line block ×6, first 2 shown]
	v_add_f64 v[164:165], v[0:1], -v[164:165]
	v_add_f64 v[168:169], v[7:8], -v[17:18]
	v_add_f64 v[172:173], v[4:5], -v[21:22]
	v_add_f64 v[166:167], v[11:12], -v[19:20]
	v_add_f64 v[170:171], v[170:171], -v[13:14]
	v_add_f64 v[174:175], v[176:177], -v[178:179]
	v_lshl_add_u32 v7, v184, 4, v185
	ds_write_b128 v212, v[128:131]
	ds_write_b128 v7, v[132:135] offset:3264
	ds_write_b128 v7, v[136:139] offset:6528
	;; [unrolled: 1-line block ×11, first 2 shown]
	s_waitcnt lgkmcnt(0)
	s_barrier
	s_and_saveexec_b64 s[2:3], vcc
	s_cbranch_execz .LBB0_9
; %bb.8:
	buffer_load_dword v12, off, s[60:63], 0 offset:56 ; 4-byte Folded Reload
	s_add_u32 s8, s12, 0x4c80
	s_addc_u32 s9, s13, 0
	ds_read_b128 v[2:5], v212
	v_mov_b32_e32 v1, s9
	s_waitcnt vmcnt(0)
	global_load_dwordx4 v[176:179], v12, s[8:9]
	v_add_co_u32_e64 v0, s[0:1], s8, v12
	v_addc_co_u32_e64 v1, s[0:1], 0, v1, s[0:1]
	s_movk_i32 s0, 0x1000
	s_waitcnt vmcnt(0) lgkmcnt(0)
	v_mul_f64 v[8:9], v[4:5], v[178:179]
	v_fma_f64 v[180:181], v[2:3], v[176:177], -v[8:9]
	v_mul_f64 v[2:3], v[2:3], v[178:179]
	v_fma_f64 v[182:183], v[4:5], v[176:177], v[2:3]
	global_load_dwordx4 v[176:179], v12, s[8:9] offset:1152
	ds_write_b128 v212, v[180:183]
	ds_read_b128 v[2:5], v7 offset:1152
	s_waitcnt vmcnt(0) lgkmcnt(0)
	v_mul_f64 v[8:9], v[4:5], v[178:179]
	v_fma_f64 v[180:181], v[2:3], v[176:177], -v[8:9]
	v_mul_f64 v[2:3], v[2:3], v[178:179]
	v_fma_f64 v[182:183], v[4:5], v[176:177], v[2:3]
	global_load_dwordx4 v[176:179], v12, s[8:9] offset:2304
	ds_read_b128 v[2:5], v7 offset:2304
	ds_write_b128 v7, v[180:183] offset:1152
	s_waitcnt vmcnt(0) lgkmcnt(1)
	v_mul_f64 v[8:9], v[4:5], v[178:179]
	v_fma_f64 v[180:181], v[2:3], v[176:177], -v[8:9]
	v_mul_f64 v[2:3], v[2:3], v[178:179]
	v_fma_f64 v[182:183], v[4:5], v[176:177], v[2:3]
	global_load_dwordx4 v[176:179], v12, s[8:9] offset:3456
	ds_read_b128 v[2:5], v7 offset:3456
	ds_write_b128 v7, v[180:183] offset:2304
	s_waitcnt vmcnt(0) lgkmcnt(1)
	v_mul_f64 v[8:9], v[4:5], v[178:179]
	v_fma_f64 v[180:181], v[2:3], v[176:177], -v[8:9]
	v_mul_f64 v[2:3], v[2:3], v[178:179]
	v_add_co_u32_e64 v8, s[0:1], s0, v0
	v_addc_co_u32_e64 v9, s[0:1], 0, v1, s[0:1]
	s_movk_i32 s0, 0x2000
	v_fma_f64 v[182:183], v[4:5], v[176:177], v[2:3]
	global_load_dwordx4 v[176:179], v[8:9], off offset:512
	ds_read_b128 v[2:5], v7 offset:4608
	ds_write_b128 v7, v[180:183] offset:3456
	s_waitcnt vmcnt(0) lgkmcnt(1)
	v_mul_f64 v[10:11], v[4:5], v[178:179]
	v_fma_f64 v[180:181], v[2:3], v[176:177], -v[10:11]
	v_mul_f64 v[2:3], v[2:3], v[178:179]
	v_fma_f64 v[182:183], v[4:5], v[176:177], v[2:3]
	global_load_dwordx4 v[176:179], v[8:9], off offset:1664
	ds_read_b128 v[2:5], v7 offset:5760
	ds_write_b128 v7, v[180:183] offset:4608
	s_waitcnt vmcnt(0) lgkmcnt(1)
	v_mul_f64 v[10:11], v[4:5], v[178:179]
	v_fma_f64 v[180:181], v[2:3], v[176:177], -v[10:11]
	v_mul_f64 v[2:3], v[2:3], v[178:179]
	;; [unrolled: 8-line block ×4, first 2 shown]
	v_add_co_u32_e64 v8, s[0:1], s0, v0
	v_addc_co_u32_e64 v9, s[0:1], 0, v1, s[0:1]
	s_movk_i32 s0, 0x3000
	v_fma_f64 v[182:183], v[4:5], v[176:177], v[2:3]
	global_load_dwordx4 v[176:179], v[8:9], off offset:1024
	ds_read_b128 v[2:5], v7 offset:9216
	ds_write_b128 v7, v[180:183] offset:8064
	s_waitcnt vmcnt(0) lgkmcnt(1)
	v_mul_f64 v[10:11], v[4:5], v[178:179]
	v_fma_f64 v[180:181], v[2:3], v[176:177], -v[10:11]
	v_mul_f64 v[2:3], v[2:3], v[178:179]
	v_fma_f64 v[182:183], v[4:5], v[176:177], v[2:3]
	global_load_dwordx4 v[176:179], v[8:9], off offset:2176
	ds_read_b128 v[2:5], v7 offset:10368
	ds_write_b128 v7, v[180:183] offset:9216
	s_waitcnt vmcnt(0) lgkmcnt(1)
	v_mul_f64 v[10:11], v[4:5], v[178:179]
	v_fma_f64 v[180:181], v[2:3], v[176:177], -v[10:11]
	v_mul_f64 v[2:3], v[2:3], v[178:179]
	;; [unrolled: 8-line block ×3, first 2 shown]
	v_add_co_u32_e64 v8, s[0:1], s0, v0
	v_addc_co_u32_e64 v9, s[0:1], 0, v1, s[0:1]
	s_movk_i32 s0, 0x4000
	v_add_co_u32_e64 v0, s[0:1], s0, v0
	v_fma_f64 v[182:183], v[4:5], v[176:177], v[2:3]
	global_load_dwordx4 v[176:179], v[8:9], off offset:384
	ds_read_b128 v[2:5], v7 offset:12672
	v_addc_co_u32_e64 v1, s[0:1], 0, v1, s[0:1]
	ds_write_b128 v7, v[180:183] offset:11520
	s_waitcnt vmcnt(0) lgkmcnt(1)
	v_mul_f64 v[10:11], v[4:5], v[178:179]
	v_fma_f64 v[180:181], v[2:3], v[176:177], -v[10:11]
	v_mul_f64 v[2:3], v[2:3], v[178:179]
	v_fma_f64 v[182:183], v[4:5], v[176:177], v[2:3]
	global_load_dwordx4 v[176:179], v[8:9], off offset:1536
	ds_read_b128 v[2:5], v7 offset:13824
	ds_write_b128 v7, v[180:183] offset:12672
	s_waitcnt vmcnt(0) lgkmcnt(1)
	v_mul_f64 v[10:11], v[4:5], v[178:179]
	v_fma_f64 v[180:181], v[2:3], v[176:177], -v[10:11]
	v_mul_f64 v[2:3], v[2:3], v[178:179]
	v_fma_f64 v[182:183], v[4:5], v[176:177], v[2:3]
	global_load_dwordx4 v[176:179], v[8:9], off offset:2688
	ds_read_b128 v[2:5], v7 offset:14976
	;; [unrolled: 8-line block ×4, first 2 shown]
	ds_write_b128 v7, v[180:183] offset:16128
	s_waitcnt vmcnt(0) lgkmcnt(1)
	v_mul_f64 v[0:1], v[4:5], v[178:179]
	v_fma_f64 v[0:1], v[2:3], v[176:177], -v[0:1]
	v_mul_f64 v[2:3], v[2:3], v[178:179]
	v_fma_f64 v[2:3], v[4:5], v[176:177], v[2:3]
	v_or_b32_e32 v4, 0x4800, v12
	global_load_dwordx4 v[176:179], v4, s[8:9]
	ds_write_b128 v7, v[0:3] offset:17280
	ds_read_b128 v[0:3], v7 offset:18432
	s_waitcnt vmcnt(0) lgkmcnt(0)
	v_mul_f64 v[4:5], v[2:3], v[178:179]
	v_fma_f64 v[180:181], v[0:1], v[176:177], -v[4:5]
	v_mul_f64 v[0:1], v[0:1], v[178:179]
	v_fma_f64 v[182:183], v[2:3], v[176:177], v[0:1]
	ds_write_b128 v7, v[180:183] offset:18432
.LBB0_9:
	s_or_b64 exec, exec, s[2:3]
	s_waitcnt lgkmcnt(0)
	s_barrier
	s_and_saveexec_b64 s[0:1], vcc
	s_cbranch_execz .LBB0_11
; %bb.10:
	ds_read_b128 v[128:131], v212
	ds_read_b128 v[132:135], v212 offset:1152
	ds_read_b128 v[136:139], v212 offset:2304
	;; [unrolled: 1-line block ×12, first 2 shown]
	s_waitcnt lgkmcnt(0)
	buffer_store_dword v0, off, s[60:63], 0 offset:40 ; 4-byte Folded Spill
	s_nop 0
	buffer_store_dword v1, off, s[60:63], 0 offset:44 ; 4-byte Folded Spill
	buffer_store_dword v2, off, s[60:63], 0 offset:48 ; 4-byte Folded Spill
	buffer_store_dword v3, off, s[60:63], 0 offset:52 ; 4-byte Folded Spill
	ds_read_b128 v[0:3], v212 offset:14976
	s_waitcnt lgkmcnt(0)
	buffer_store_dword v0, off, s[60:63], 0 offset:24 ; 4-byte Folded Spill
	s_nop 0
	buffer_store_dword v1, off, s[60:63], 0 offset:28 ; 4-byte Folded Spill
	buffer_store_dword v2, off, s[60:63], 0 offset:32 ; 4-byte Folded Spill
	buffer_store_dword v3, off, s[60:63], 0 offset:36 ; 4-byte Folded Spill
	ds_read_b128 v[0:3], v212 offset:16128
	;; [unrolled: 7-line block ×3, first 2 shown]
	ds_read_b128 v[198:201], v212 offset:18432
.LBB0_11:
	s_or_b64 exec, exec, s[0:1]
	v_add_u32_e32 v89, 0x660, v7
	s_waitcnt vmcnt(0) lgkmcnt(0)
	s_barrier
	s_and_saveexec_b64 s[0:1], vcc
	s_cbranch_execz .LBB0_13
; %bb.12:
	buffer_store_dword v213, off, s[60:63], 0 offset:140 ; 4-byte Folded Spill
	s_nop 0
	buffer_store_dword v214, off, s[60:63], 0 offset:144 ; 4-byte Folded Spill
	buffer_store_dword v215, off, s[60:63], 0 offset:148 ; 4-byte Folded Spill
	;; [unrolled: 1-line block ×4, first 2 shown]
	buffer_load_dword v56, off, s[60:63], 0 offset:40 ; 4-byte Folded Reload
	s_nop 0
	buffer_load_dword v57, off, s[60:63], 0 offset:44 ; 4-byte Folded Reload
	buffer_load_dword v58, off, s[60:63], 0 offset:48 ; 4-byte Folded Reload
	;; [unrolled: 1-line block ×3, first 2 shown]
	s_nop 0
	buffer_store_dword v52, off, s[60:63], 0 offset:172 ; 4-byte Folded Spill
	buffer_store_dword v53, off, s[60:63], 0 offset:180 ; 4-byte Folded Spill
	buffer_load_dword v52, off, s[60:63], 0 offset:24 ; 4-byte Folded Reload
	s_nop 0
	buffer_load_dword v53, off, s[60:63], 0 offset:28 ; 4-byte Folded Reload
	buffer_load_dword v54, off, s[60:63], 0 offset:32 ; 4-byte Folded Reload
	;; [unrolled: 1-line block ×3, first 2 shown]
	s_nop 0
	buffer_store_dword v191, off, s[60:63], 0 offset:108 ; 4-byte Folded Spill
	s_nop 0
	buffer_store_dword v192, off, s[60:63], 0 offset:112 ; 4-byte Folded Spill
	buffer_store_dword v193, off, s[60:63], 0 offset:116 ; 4-byte Folded Spill
	;; [unrolled: 1-line block ×5, first 2 shown]
	s_nop 0
	buffer_store_dword v230, off, s[60:63], 0 offset:240 ; 4-byte Folded Spill
	buffer_store_dword v231, off, s[60:63], 0 offset:244 ; 4-byte Folded Spill
	;; [unrolled: 1-line block ×4, first 2 shown]
	s_nop 0
	buffer_store_dword v47, off, s[60:63], 0 offset:80 ; 4-byte Folded Spill
	buffer_store_dword v48, off, s[60:63], 0 offset:84 ; 4-byte Folded Spill
	;; [unrolled: 1-line block ×3, first 2 shown]
	buffer_load_dword v48, off, s[60:63], 0 offset:8 ; 4-byte Folded Reload
	s_nop 0
	buffer_load_dword v49, off, s[60:63], 0 offset:12 ; 4-byte Folded Reload
	buffer_load_dword v50, off, s[60:63], 0 offset:16 ; 4-byte Folded Reload
	;; [unrolled: 1-line block ×3, first 2 shown]
	v_add_f64 v[0:1], v[160:161], -v[164:165]
	v_add_f64 v[239:240], v[132:133], -v[198:199]
	s_mov_b32 s50, 0xeb564b22
	s_mov_b32 s51, 0x3fefdd0d
	;; [unrolled: 1-line block ×4, first 2 shown]
	v_add_f64 v[231:232], v[200:201], v[134:135]
	s_mov_b32 s38, 0x5d8e7cdc
	v_mov_b32_e32 v211, v1
	v_mul_f64 v[8:9], v[0:1], s[50:51]
	v_mov_b32_e32 v210, v0
	v_add_f64 v[0:1], v[136:137], -v[202:203]
	v_mul_f64 v[2:3], v[239:240], s[16:17]
	s_mov_b32 s2, 0x7faef3
	s_mov_b32 s39, 0x3fd71e95
	buffer_store_dword v225, off, s[60:63], 0 offset:220 ; 4-byte Folded Spill
	s_nop 0
	buffer_store_dword v226, off, s[60:63], 0 offset:224 ; 4-byte Folded Spill
	buffer_store_dword v227, off, s[60:63], 0 offset:228 ; 4-byte Folded Spill
	;; [unrolled: 1-line block ×3, first 2 shown]
	s_mov_b32 s3, 0xbfef7484
	v_add_f64 v[227:228], v[204:205], v[138:139]
	s_mov_b32 s22, 0x4363dd80
	v_mov_b32_e32 v194, v1
	v_mul_f64 v[10:11], v[0:1], s[38:39]
	v_mov_b32_e32 v193, v0
	v_fma_f64 v[0:1], v[231:232], s[2:3], v[2:3]
	s_mov_b32 s18, 0x370991
	s_mov_b32 s23, 0xbfe0d888
	;; [unrolled: 1-line block ×7, first 2 shown]
	v_add_f64 v[0:1], v[130:131], v[0:1]
	s_mov_b32 s24, 0x6c9a05f6
	s_mov_b32 s20, 0x75d4884
	v_add_f64 v[22:23], v[152:153], -v[172:173]
	s_mov_b32 s25, 0xbfe9895b
	buffer_store_dword v221, off, s[60:63], 0 offset:204 ; 4-byte Folded Spill
	s_nop 0
	buffer_store_dword v222, off, s[60:63], 0 offset:208 ; 4-byte Folded Spill
	buffer_store_dword v223, off, s[60:63], 0 offset:212 ; 4-byte Folded Spill
	;; [unrolled: 1-line block ×3, first 2 shown]
	s_mov_b32 s21, 0x3fe7a5f6
	s_mov_b32 s42, 0x7c9e640b
	;; [unrolled: 1-line block ×5, first 2 shown]
	v_mov_b32_e32 v236, v23
	v_mov_b32_e32 v235, v22
	v_add_f64 v[221:222], v[174:175], v[154:155]
	v_add_f64 v[28:29], v[134:135], -v[200:201]
	s_mov_b32 s34, 0x2b2883cd
	s_mov_b32 s35, 0x3fdc86fa
	v_add_f64 v[26:27], v[138:139], -v[204:205]
	v_add_f64 v[243:244], v[198:199], v[132:133]
	buffer_store_dword v90, off, s[60:63], 0 offset:444 ; 4-byte Folded Spill
	s_nop 0
	buffer_store_dword v91, off, s[60:63], 0 offset:448 ; 4-byte Folded Spill
	buffer_store_dword v92, off, s[60:63], 0 offset:452 ; 4-byte Folded Spill
	buffer_store_dword v93, off, s[60:63], 0 offset:456 ; 4-byte Folded Spill
	buffer_store_dword v217, off, s[60:63], 0 offset:188 ; 4-byte Folded Spill
	s_nop 0
	buffer_store_dword v218, off, s[60:63], 0 offset:192 ; 4-byte Folded Spill
	buffer_store_dword v219, off, s[60:63], 0 offset:196 ; 4-byte Folded Spill
	buffer_store_dword v220, off, s[60:63], 0 offset:200 ; 4-byte Folded Spill
	buffer_store_dword v198, off, s[60:63], 0 offset:252 ; 4-byte Folded Spill
	s_nop 0
	buffer_store_dword v199, off, s[60:63], 0 offset:256 ; 4-byte Folded Spill
	buffer_store_dword v200, off, s[60:63], 0 offset:260 ; 4-byte Folded Spill
	buffer_store_dword v201, off, s[60:63], 0 offset:264 ; 4-byte Folded Spill
	v_add_f64 v[241:242], v[202:203], v[136:137]
	v_fma_f64 v[2:3], v[231:232], s[2:3], -v[2:3]
	buffer_store_dword v202, off, s[60:63], 0 offset:60 ; 4-byte Folded Spill
	s_nop 0
	buffer_store_dword v203, off, s[60:63], 0 offset:64 ; 4-byte Folded Spill
	buffer_store_dword v204, off, s[60:63], 0 offset:68 ; 4-byte Folded Spill
	;; [unrolled: 1-line block ×4, first 2 shown]
	s_nop 0
	buffer_store_dword v207, off, s[60:63], 0 offset:128 ; 4-byte Folded Spill
	buffer_store_dword v208, off, s[60:63], 0 offset:132 ; 4-byte Folded Spill
	;; [unrolled: 1-line block ×3, first 2 shown]
	v_add_f64 v[24:25], v[154:155], -v[174:175]
	v_add_f64 v[4:5], v[156:157], -v[168:169]
	;; [unrolled: 1-line block ×3, first 2 shown]
	s_mov_b32 s26, 0x923c349f
	s_mov_b32 s27, 0xbfeec746
	v_add_f64 v[2:3], v[130:131], v[2:3]
	v_add_f64 v[219:220], v[158:159], v[170:171]
	v_add_f64 v[30:31], v[162:163], -v[166:167]
	s_mov_b32 s28, 0xc61f0d01
	s_mov_b32 s29, 0xbfd183b1
	v_add_f64 v[213:214], v[162:163], v[166:167]
	s_mov_b32 s30, 0x3259b75e
	s_mov_b32 s31, 0x3fb79ee6
	v_mov_b32_e32 v75, v29
	v_mov_b32_e32 v74, v28
	buffer_store_dword v98, off, s[60:63], 0 offset:476 ; 4-byte Folded Spill
	s_nop 0
	buffer_store_dword v99, off, s[60:63], 0 offset:480 ; 4-byte Folded Spill
	buffer_store_dword v100, off, s[60:63], 0 offset:484 ; 4-byte Folded Spill
	;; [unrolled: 1-line block ×3, first 2 shown]
	v_mov_b32_e32 v254, v27
	v_mov_b32_e32 v253, v26
	s_waitcnt vmcnt(57)
	v_add_f64 v[20:21], v[148:149], -v[56:57]
	s_waitcnt vmcnt(55)
	v_add_f64 v[223:224], v[58:59], v[150:151]
	s_waitcnt vmcnt(51)
	v_add_f64 v[18:19], v[144:145], -v[52:53]
	s_waitcnt vmcnt(49)
	v_add_f64 v[225:226], v[146:147], v[54:55]
	v_add_f64 v[191:192], v[146:147], -v[54:55]
	v_add_f64 v[180:181], v[144:145], v[52:53]
	s_waitcnt vmcnt(34)
	v_add_f64 v[14:15], v[140:141], -v[48:49]
	s_waitcnt vmcnt(32)
	v_add_f64 v[229:230], v[142:143], v[50:51]
	v_mov_b32_e32 v234, v21
	v_mov_b32_e32 v233, v20
	v_mov_b32_e32 v238, v19
	v_mul_f64 v[16:17], v[18:19], s[46:47]
	v_mov_b32_e32 v237, v18
	v_add_f64 v[91:92], v[142:143], -v[50:51]
	v_mov_b32_e32 v47, v15
	v_mul_f64 v[12:13], v[14:15], s[22:23]
	v_mov_b32_e32 v46, v14
	v_fma_f64 v[14:15], v[227:228], s[18:19], v[10:11]
	v_add_f64 v[251:252], v[140:141], v[48:49]
	v_fma_f64 v[10:11], v[227:228], s[18:19], -v[10:11]
	v_mul_f64 v[202:203], v[191:192], s[46:47]
	v_mul_f64 v[182:183], v[91:92], s[22:23]
	v_mov_b32_e32 v248, v192
	v_fma_f64 v[18:19], v[229:230], s[8:9], v[12:13]
	v_fma_f64 v[12:13], v[229:230], s[8:9], -v[12:13]
	v_add_f64 v[0:1], v[14:15], v[0:1]
	v_mul_f64 v[14:15], v[20:21], s[24:25]
	v_fma_f64 v[20:21], v[225:226], s[20:21], v[16:17]
	v_add_f64 v[2:3], v[10:11], v[2:3]
	v_fma_f64 v[204:205], v[251:252], s[8:9], -v[182:183]
	v_fma_f64 v[16:17], v[225:226], s[20:21], -v[16:17]
	v_mov_b32_e32 v247, v191
	v_mov_b32_e32 v191, v5
	v_add_f64 v[0:1], v[18:19], v[0:1]
	v_mul_f64 v[18:19], v[22:23], s[42:43]
	v_fma_f64 v[22:23], v[223:224], s[10:11], v[14:15]
	v_add_f64 v[2:3], v[12:13], v[2:3]
	v_fma_f64 v[12:13], v[251:252], s[8:9], v[182:183]
	v_add_f64 v[182:183], v[172:173], v[152:153]
	v_fma_f64 v[14:15], v[223:224], s[10:11], -v[14:15]
	v_mov_b32_e32 v190, v4
	v_add_f64 v[0:1], v[20:21], v[0:1]
	v_fma_f64 v[176:177], v[221:222], s[34:35], v[18:19]
	v_mul_f64 v[20:21], v[4:5], s[26:27]
	v_add_f64 v[2:3], v[16:17], v[2:3]
	v_fma_f64 v[16:17], v[180:181], s[20:21], v[202:203]
	v_fma_f64 v[18:19], v[221:222], s[34:35], -v[18:19]
	v_mov_b32_e32 v4, v193
	v_mov_b32_e32 v5, v194
	v_add_f64 v[0:1], v[22:23], v[0:1]
	v_mul_f64 v[22:23], v[28:29], s[16:17]
	v_fma_f64 v[196:197], v[219:220], s[28:29], v[20:21]
	v_add_f64 v[14:15], v[14:15], v[2:3]
	v_add_f64 v[2:3], v[160:161], v[164:165]
	v_fma_f64 v[20:21], v[219:220], s[28:29], -v[20:21]
	v_mov_b32_e32 v216, v211
	v_mov_b32_e32 v89, v233
	v_add_f64 v[198:199], v[176:177], v[0:1]
	v_mul_f64 v[176:177], v[26:27], s[38:39]
	v_fma_f64 v[178:179], v[243:244], s[2:3], -v[22:23]
	v_add_f64 v[0:1], v[150:151], -v[58:59]
	v_fma_f64 v[22:23], v[243:244], s[2:3], v[22:23]
	v_add_f64 v[14:15], v[18:19], v[14:15]
	s_mov_b32 s41, 0xbfefdd0d
	s_mov_b32 s40, s50
	v_add_f64 v[196:197], v[196:197], v[198:199]
	v_fma_f64 v[200:201], v[241:242], s[18:19], -v[176:177]
	v_add_f64 v[178:179], v[128:129], v[178:179]
	v_fma_f64 v[10:11], v[241:242], s[18:19], v[176:177]
	v_add_f64 v[22:23], v[128:129], v[22:23]
	v_mul_f64 v[206:207], v[0:1], s[24:25]
	v_fma_f64 v[176:177], v[180:181], s[20:21], -v[202:203]
	v_add_f64 v[14:15], v[20:21], v[14:15]
	v_mov_b32_e32 v215, v210
	v_mov_b32_e32 v90, v234
	v_add_f64 v[200:201], v[200:201], v[178:179]
	v_add_f64 v[178:179], v[56:57], v[148:149]
	v_add_f64 v[10:11], v[10:11], v[22:23]
	v_mul_f64 v[22:23], v[24:25], s[42:43]
	v_mul_f64 v[208:209], v[46:47], s[40:41]
	;; [unrolled: 1-line block ×3, first 2 shown]
	s_mov_b32 s55, 0x3fe9895b
	s_mov_b32 s54, s24
	v_add_f64 v[200:201], v[204:205], v[200:201]
	v_fma_f64 v[204:205], v[178:179], s[10:11], -v[206:207]
	v_add_f64 v[10:11], v[12:13], v[10:11]
	v_mul_f64 v[12:13], v[32:33], s[26:27]
	v_fma_f64 v[202:203], v[182:183], s[34:35], -v[22:23]
	v_fma_f64 v[18:19], v[182:183], s[34:35], v[22:23]
	v_fma_f64 v[22:23], v[213:214], s[30:31], v[8:9]
	v_fma_f64 v[8:9], v[213:214], s[30:31], -v[8:9]
	v_add_f64 v[200:201], v[176:177], v[200:201]
	v_add_f64 v[176:177], v[156:157], v[168:169]
	;; [unrolled: 1-line block ×3, first 2 shown]
	v_mul_f64 v[16:17], v[30:31], s[50:51]
	v_mov_b32_e32 v194, v237
	v_mov_b32_e32 v195, v238
	v_fma_f64 v[245:246], v[241:242], s[34:35], -v[192:193]
	v_add_f64 v[28:29], v[8:9], v[14:15]
	v_add_f64 v[200:201], v[204:205], v[200:201]
	v_fma_f64 v[204:205], v[178:179], s[10:11], v[206:207]
	v_fma_f64 v[206:207], v[176:177], s[28:29], -v[12:13]
	v_fma_f64 v[198:199], v[2:3], s[30:31], -v[16:17]
	v_mul_f64 v[14:15], v[239:240], s[22:23]
	v_fma_f64 v[192:193], v[241:242], s[34:35], v[192:193]
	v_mov_b32_e32 v218, v25
	v_mov_b32_e32 v217, v24
	v_add_f64 v[200:201], v[202:203], v[200:201]
	v_add_f64 v[202:203], v[22:23], v[196:197]
	;; [unrolled: 1-line block ×3, first 2 shown]
	v_mul_f64 v[204:205], v[237:238], s[54:55]
	v_fma_f64 v[237:238], v[229:230], s[30:31], v[208:209]
	v_mov_b32_e32 v24, v247
	v_mov_b32_e32 v100, v235
	s_mov_b32 s37, 0xbfd71e95
	v_add_f64 v[200:201], v[206:207], v[200:201]
	v_mul_f64 v[206:207], v[74:75], s[22:23]
	s_mov_b32 s36, s38
	v_mov_b32_e32 v25, v248
	v_mul_f64 v[22:23], v[235:236], s[16:17]
	v_mov_b32_e32 v101, v236
	v_fma_f64 v[235:236], v[225:226], s[10:11], v[204:205]
	v_fma_f64 v[208:209], v[229:230], s[30:31], -v[208:209]
	v_add_f64 v[200:201], v[198:199], v[200:201]
	buffer_store_dword v200, off, s[60:63], 0 offset:292 ; 4-byte Folded Spill
	s_nop 0
	buffer_store_dword v201, off, s[60:63], 0 offset:296 ; 4-byte Folded Spill
	buffer_store_dword v202, off, s[60:63], 0 offset:300 ; 4-byte Folded Spill
	;; [unrolled: 1-line block ×3, first 2 shown]
	v_mul_f64 v[200:201], v[4:5], s[42:43]
	v_fma_f64 v[202:203], v[231:232], s[8:9], v[14:15]
	v_fma_f64 v[233:234], v[243:244], s[8:9], -v[206:207]
	v_fma_f64 v[14:15], v[231:232], s[8:9], -v[14:15]
	v_fma_f64 v[206:207], v[243:244], s[8:9], v[206:207]
	v_mul_f64 v[198:199], v[89:90], s[36:37]
	v_mov_b32_e32 v250, v1
	v_mov_b32_e32 v249, v0
	v_fma_f64 v[210:211], v[227:228], s[34:35], v[200:201]
	v_add_f64 v[202:203], v[130:131], v[202:203]
	v_fma_f64 v[200:201], v[227:228], s[34:35], -v[200:201]
	v_add_f64 v[14:15], v[130:131], v[14:15]
	v_add_f64 v[206:207], v[128:129], v[206:207]
	;; [unrolled: 1-line block ×3, first 2 shown]
	v_fma_f64 v[0:1], v[223:224], s[18:19], v[198:199]
	v_fma_f64 v[204:205], v[225:226], s[10:11], -v[204:205]
	v_fma_f64 v[12:13], v[176:177], s[28:29], v[12:13]
	v_add_f64 v[202:203], v[210:211], v[202:203]
	v_mul_f64 v[210:211], v[91:92], s[40:41]
	v_add_f64 v[14:15], v[200:201], v[14:15]
	v_add_f64 v[192:193], v[192:193], v[206:207]
	;; [unrolled: 1-line block ×3, first 2 shown]
	v_mul_f64 v[206:207], v[249:250], s[36:37]
	v_add_f64 v[10:11], v[18:19], v[10:11]
	v_mul_f64 v[20:21], v[190:191], s[46:47]
	v_add_f64 v[202:203], v[237:238], v[202:203]
	v_mul_f64 v[237:238], v[24:25], s[54:55]
	v_fma_f64 v[200:201], v[251:252], s[30:31], v[210:211]
	v_fma_f64 v[247:248], v[251:252], s[30:31], -v[210:211]
	v_add_f64 v[14:15], v[208:209], v[14:15]
	v_fma_f64 v[196:197], v[221:222], s[2:3], v[22:23]
	v_fma_f64 v[198:199], v[223:224], s[18:19], -v[198:199]
	v_fma_f64 v[8:9], v[2:3], s[30:31], v[16:17]
	v_add_f64 v[202:203], v[235:236], v[202:203]
	v_fma_f64 v[208:209], v[180:181], s[10:11], v[237:238]
	v_add_f64 v[192:193], v[200:201], v[192:193]
	v_fma_f64 v[210:211], v[180:181], s[10:11], -v[237:238]
	v_add_f64 v[233:234], v[247:248], v[233:234]
	v_mul_f64 v[200:201], v[217:218], s[16:17]
	v_add_f64 v[14:15], v[204:205], v[14:15]
	v_fma_f64 v[204:205], v[178:179], s[18:19], v[206:207]
	v_add_f64 v[0:1], v[0:1], v[202:203]
	v_add_f64 v[10:11], v[12:13], v[10:11]
	;; [unrolled: 1-line block ×3, first 2 shown]
	v_mul_f64 v[18:19], v[215:216], s[26:27]
	v_fma_f64 v[16:17], v[219:220], s[20:21], v[20:21]
	v_fma_f64 v[202:203], v[178:179], s[18:19], -v[206:207]
	v_add_f64 v[210:211], v[210:211], v[233:234]
	v_fma_f64 v[22:23], v[221:222], s[2:3], -v[22:23]
	v_add_f64 v[0:1], v[196:197], v[0:1]
	v_mul_f64 v[196:197], v[32:33], s[46:47]
	v_add_f64 v[14:15], v[198:199], v[14:15]
	v_fma_f64 v[198:199], v[182:183], s[2:3], v[200:201]
	v_add_f64 v[192:193], v[204:205], v[192:193]
	v_add_f64 v[26:27], v[8:9], v[10:11]
	v_fma_f64 v[12:13], v[213:214], s[28:29], v[18:19]
	v_fma_f64 v[206:207], v[182:183], s[2:3], -v[200:201]
	v_add_f64 v[202:203], v[202:203], v[210:211]
	v_add_f64 v[0:1], v[16:17], v[0:1]
	v_mul_f64 v[16:17], v[30:31], s[26:27]
	v_fma_f64 v[20:21], v[219:220], s[20:21], -v[20:21]
	v_add_f64 v[14:15], v[22:23], v[14:15]
	v_fma_f64 v[22:23], v[176:177], s[20:21], v[196:197]
	v_add_f64 v[192:193], v[198:199], v[192:193]
	buffer_store_dword v26, off, s[60:63], 0 offset:308 ; 4-byte Folded Spill
	s_nop 0
	buffer_store_dword v27, off, s[60:63], 0 offset:312 ; 4-byte Folded Spill
	buffer_store_dword v28, off, s[60:63], 0 offset:316 ; 4-byte Folded Spill
	;; [unrolled: 1-line block ×3, first 2 shown]
	v_fma_f64 v[200:201], v[176:177], s[20:21], -v[196:197]
	v_add_f64 v[202:203], v[206:207], v[202:203]
	v_add_f64 v[28:29], v[12:13], v[0:1]
	v_fma_f64 v[0:1], v[2:3], s[28:29], -v[16:17]
	v_add_f64 v[12:13], v[20:21], v[14:15]
	v_fma_f64 v[14:15], v[2:3], s[28:29], v[16:17]
	v_add_f64 v[16:17], v[22:23], v[192:193]
	v_mul_f64 v[22:23], v[239:240], s[24:25]
	v_mul_f64 v[198:199], v[74:75], s[24:25]
	s_mov_b32 s53, 0x3feec746
	s_mov_b32 s52, s26
	v_add_f64 v[8:9], v[200:201], v[202:203]
	v_mul_f64 v[200:201], v[4:5], s[52:53]
	v_mul_f64 v[233:234], v[253:254], s[52:53]
	v_mov_b32_e32 v98, v215
	v_fma_f64 v[204:205], v[231:232], s[10:11], v[22:23]
	v_fma_f64 v[235:236], v[243:244], s[10:11], -v[198:199]
	v_fma_f64 v[22:23], v[231:232], s[10:11], -v[22:23]
	;; [unrolled: 1-line block ×3, first 2 shown]
	v_mul_f64 v[18:19], v[215:216], s[42:43]
	v_mov_b32_e32 v99, v216
	v_mul_f64 v[208:209], v[46:47], s[36:37]
	v_fma_f64 v[237:238], v[227:228], s[28:29], v[200:201]
	v_add_f64 v[204:205], v[130:131], v[204:205]
	v_mul_f64 v[215:216], v[91:92], s[36:37]
	buffer_store_dword v184, off, s[60:63], 0 offset:268 ; 4-byte Folded Spill
	buffer_store_dword v185, off, s[60:63], 0 offset:324 ; 4-byte Folded Spill
	v_fma_f64 v[184:185], v[241:242], s[28:29], -v[233:234]
	v_add_f64 v[235:236], v[128:129], v[235:236]
	v_fma_f64 v[200:201], v[227:228], s[28:29], -v[200:201]
	v_add_f64 v[22:23], v[130:131], v[22:23]
	buffer_store_dword v186, off, s[60:63], 0 offset:92 ; 4-byte Folded Spill
	s_nop 0
	buffer_store_dword v187, off, s[60:63], 0 offset:96 ; 4-byte Folded Spill
	buffer_store_dword v188, off, s[60:63], 0 offset:100 ; 4-byte Folded Spill
	;; [unrolled: 1-line block ×3, first 2 shown]
	v_mov_b32_e32 v102, v190
	v_mul_f64 v[245:246], v[194:195], s[22:23]
	v_fma_f64 v[247:248], v[229:230], s[18:19], v[208:209]
	v_add_f64 v[204:205], v[237:238], v[204:205]
	v_mul_f64 v[186:187], v[24:25], s[22:23]
	v_fma_f64 v[198:199], v[243:244], s[10:11], v[198:199]
	v_fma_f64 v[188:189], v[251:252], s[18:19], -v[215:216]
	v_add_f64 v[184:185], v[184:185], v[235:236]
	v_mul_f64 v[20:21], v[190:191], s[16:17]
	v_mov_b32_e32 v103, v191
	v_fma_f64 v[190:191], v[229:230], s[18:19], -v[208:209]
	v_add_f64 v[22:23], v[200:201], v[22:23]
	v_mul_f64 v[196:197], v[89:90], s[50:51]
	v_fma_f64 v[237:238], v[225:226], s[8:9], v[245:246]
	v_add_f64 v[200:201], v[247:248], v[204:205]
	v_mul_f64 v[204:205], v[249:250], s[50:51]
	v_fma_f64 v[208:209], v[241:242], s[28:29], v[233:234]
	v_add_f64 v[198:199], v[128:129], v[198:199]
	v_fma_f64 v[233:234], v[180:181], s[8:9], -v[186:187]
	v_add_f64 v[184:185], v[188:189], v[184:185]
	v_fma_f64 v[188:189], v[225:226], s[8:9], -v[245:246]
	v_add_f64 v[22:23], v[190:191], v[22:23]
	s_mov_b32 s45, 0xbfe58eea
	s_mov_b32 s44, s46
	v_mul_f64 v[192:193], v[100:101], s[44:45]
	v_fma_f64 v[210:211], v[223:224], s[30:31], v[196:197]
	v_add_f64 v[190:191], v[237:238], v[200:201]
	v_mul_f64 v[200:201], v[217:218], s[44:45]
	v_fma_f64 v[215:216], v[251:252], s[18:19], v[215:216]
	v_add_f64 v[198:199], v[208:209], v[198:199]
	v_fma_f64 v[208:209], v[178:179], s[30:31], -v[204:205]
	v_add_f64 v[184:185], v[233:234], v[184:185]
	v_fma_f64 v[196:197], v[223:224], s[30:31], -v[196:197]
	v_add_f64 v[22:23], v[188:189], v[22:23]
	v_fma_f64 v[206:207], v[221:222], s[20:21], v[192:193]
	v_add_f64 v[188:189], v[210:211], v[190:191]
	v_mul_f64 v[190:191], v[32:33], s[16:17]
	v_fma_f64 v[186:187], v[180:181], s[8:9], v[186:187]
	v_add_f64 v[198:199], v[215:216], v[198:199]
	v_fma_f64 v[210:211], v[182:183], s[20:21], -v[200:201]
	v_add_f64 v[184:185], v[208:209], v[184:185]
	v_fma_f64 v[192:193], v[221:222], s[20:21], -v[192:193]
	v_add_f64 v[22:23], v[196:197], v[22:23]
	v_fma_f64 v[202:203], v[219:220], s[2:3], v[20:21]
	v_add_f64 v[188:189], v[206:207], v[188:189]
	v_mul_f64 v[196:197], v[30:31], s[42:43]
	v_add_f64 v[186:187], v[186:187], v[198:199]
	v_fma_f64 v[198:199], v[176:177], s[2:3], -v[190:191]
	v_add_f64 v[184:185], v[210:211], v[184:185]
	v_fma_f64 v[204:205], v[178:179], s[30:31], v[204:205]
	v_fma_f64 v[20:21], v[219:220], s[2:3], -v[20:21]
	v_add_f64 v[22:23], v[192:193], v[22:23]
	v_add_f64 v[26:27], v[0:1], v[8:9]
	;; [unrolled: 1-line block ×4, first 2 shown]
	v_fma_f64 v[192:193], v[213:214], s[34:35], v[18:19]
	v_add_f64 v[188:189], v[202:203], v[188:189]
	v_fma_f64 v[202:203], v[2:3], s[34:35], -v[196:197]
	v_add_f64 v[184:185], v[198:199], v[184:185]
	v_fma_f64 v[200:201], v[182:183], s[20:21], v[200:201]
	v_add_f64 v[186:187], v[204:205], v[186:187]
	v_fma_f64 v[18:19], v[213:214], s[34:35], -v[18:19]
	v_add_f64 v[20:21], v[20:21], v[22:23]
	v_mul_f64 v[14:15], v[239:240], s[26:27]
	v_mul_f64 v[16:17], v[74:75], s[26:27]
	buffer_store_dword v26, off, s[60:63], 0 offset:332 ; 4-byte Folded Spill
	s_nop 0
	buffer_store_dword v27, off, s[60:63], 0 offset:336 ; 4-byte Folded Spill
	buffer_store_dword v28, off, s[60:63], 0 offset:340 ; 4-byte Folded Spill
	buffer_store_dword v29, off, s[60:63], 0 offset:344 ; 4-byte Folded Spill
	buffer_store_dword v10, off, s[60:63], 0 offset:364 ; 4-byte Folded Spill
	s_nop 0
	buffer_store_dword v11, off, s[60:63], 0 offset:368 ; 4-byte Folded Spill
	buffer_store_dword v12, off, s[60:63], 0 offset:372 ; 4-byte Folded Spill
	;; [unrolled: 1-line block ×3, first 2 shown]
	v_add_f64 v[12:13], v[192:193], v[188:189]
	v_add_f64 v[10:11], v[202:203], v[184:185]
	s_mov_b32 s57, 0x3fe0d888
	s_mov_b32 s56, s22
	v_add_f64 v[8:9], v[200:201], v[186:187]
	v_add_f64 v[198:199], v[18:19], v[20:21]
	v_mul_f64 v[18:19], v[4:5], s[56:57]
	v_fma_f64 v[22:23], v[231:232], s[28:29], v[14:15]
	v_mul_f64 v[184:185], v[253:254], s[56:57]
	v_fma_f64 v[186:187], v[243:244], s[28:29], -v[16:17]
	v_fma_f64 v[14:15], v[231:232], s[28:29], -v[14:15]
	buffer_store_dword v10, off, s[60:63], 0 offset:348 ; 4-byte Folded Spill
	s_nop 0
	buffer_store_dword v11, off, s[60:63], 0 offset:352 ; 4-byte Folded Spill
	buffer_store_dword v12, off, s[60:63], 0 offset:356 ; 4-byte Folded Spill
	;; [unrolled: 1-line block ×3, first 2 shown]
	v_fma_f64 v[0:1], v[176:177], s[2:3], v[190:191]
	v_fma_f64 v[10:11], v[2:3], s[34:35], v[196:197]
	v_mul_f64 v[188:189], v[46:47], s[46:47]
	v_fma_f64 v[190:191], v[227:228], s[8:9], v[18:19]
	v_add_f64 v[22:23], v[130:131], v[22:23]
	v_mul_f64 v[192:193], v[91:92], s[46:47]
	v_fma_f64 v[196:197], v[241:242], s[8:9], -v[184:185]
	v_add_f64 v[186:187], v[128:129], v[186:187]
	v_fma_f64 v[18:19], v[227:228], s[8:9], -v[18:19]
	v_add_f64 v[14:15], v[130:131], v[14:15]
	v_mov_b32_e32 v216, v195
	s_mov_b32 s49, 0xbfeca52d
	s_mov_b32 s48, s42
	v_mov_b32_e32 v215, v194
	v_mul_f64 v[200:201], v[215:216], s[48:49]
	v_fma_f64 v[202:203], v[229:230], s[20:21], v[188:189]
	v_add_f64 v[22:23], v[190:191], v[22:23]
	v_mul_f64 v[190:191], v[24:25], s[48:49]
	v_fma_f64 v[204:205], v[251:252], s[20:21], -v[192:193]
	v_add_f64 v[186:187], v[196:197], v[186:187]
	v_fma_f64 v[188:189], v[229:230], s[20:21], -v[188:189]
	v_add_f64 v[14:15], v[18:19], v[14:15]
	v_mul_f64 v[196:197], v[89:90], s[16:17]
	v_fma_f64 v[206:207], v[225:226], s[34:35], v[200:201]
	v_add_f64 v[18:19], v[202:203], v[22:23]
	v_mul_f64 v[22:23], v[249:250], s[16:17]
	v_fma_f64 v[202:203], v[180:181], s[34:35], -v[190:191]
	v_add_f64 v[186:187], v[204:205], v[186:187]
	v_fma_f64 v[200:201], v[225:226], s[34:35], -v[200:201]
	v_add_f64 v[14:15], v[188:189], v[14:15]
	v_fma_f64 v[208:209], v[223:224], s[2:3], v[196:197]
	v_mul_f64 v[188:189], v[217:218], s[50:51]
	v_add_f64 v[18:19], v[206:207], v[18:19]
	v_fma_f64 v[206:207], v[178:179], s[2:3], -v[22:23]
	v_mul_f64 v[204:205], v[100:101], s[50:51]
	v_add_f64 v[186:187], v[202:203], v[186:187]
	v_fma_f64 v[196:197], v[223:224], s[2:3], -v[196:197]
	v_fma_f64 v[16:17], v[243:244], s[28:29], v[16:17]
	v_add_f64 v[14:15], v[200:201], v[14:15]
	v_fma_f64 v[200:201], v[182:183], s[30:31], -v[188:189]
	v_add_f64 v[18:19], v[208:209], v[18:19]
	v_mul_f64 v[208:209], v[32:33], s[36:37]
	v_mul_f64 v[12:13], v[102:103], s[36:37]
	v_add_f64 v[186:187], v[206:207], v[186:187]
	v_fma_f64 v[202:203], v[221:222], s[30:31], v[204:205]
	v_fma_f64 v[204:205], v[221:222], s[30:31], -v[204:205]
	v_fma_f64 v[184:185], v[241:242], s[8:9], v[184:185]
	v_add_f64 v[16:17], v[128:129], v[16:17]
	v_add_f64 v[14:15], v[196:197], v[14:15]
	;; [unrolled: 1-line block ×3, first 2 shown]
	v_fma_f64 v[196:197], v[176:177], s[18:19], -v[208:209]
	v_add_f64 v[186:187], v[200:201], v[186:187]
	v_mul_f64 v[8:9], v[98:99], s[24:25]
	v_fma_f64 v[20:21], v[219:220], s[18:19], v[12:13]
	v_add_f64 v[18:19], v[202:203], v[18:19]
	v_fma_f64 v[12:13], v[219:220], s[18:19], -v[12:13]
	v_fma_f64 v[192:193], v[251:252], s[20:21], v[192:193]
	v_add_f64 v[16:17], v[184:185], v[16:17]
	v_add_f64 v[14:15], v[204:205], v[14:15]
	v_mov_b32_e32 v26, v30
	v_mov_b32_e32 v27, v31
	v_add_f64 v[186:187], v[196:197], v[186:187]
	v_add_f64 v[196:197], v[10:11], v[0:1]
	v_mul_f64 v[210:211], v[26:27], s[24:25]
	v_fma_f64 v[184:185], v[213:214], s[10:11], v[8:9]
	v_add_f64 v[18:19], v[20:21], v[18:19]
	v_fma_f64 v[8:9], v[213:214], s[10:11], -v[8:9]
	v_fma_f64 v[190:191], v[180:181], s[34:35], v[190:191]
	v_add_f64 v[16:17], v[192:193], v[16:17]
	v_add_f64 v[12:13], v[12:13], v[14:15]
	v_mul_f64 v[0:1], v[239:240], s[40:41]
	v_mul_f64 v[14:15], v[74:75], s[40:41]
	v_mov_b32_e32 v195, v5
	buffer_store_dword v196, off, s[60:63], 0 offset:396 ; 4-byte Folded Spill
	s_nop 0
	buffer_store_dword v197, off, s[60:63], 0 offset:400 ; 4-byte Folded Spill
	buffer_store_dword v198, off, s[60:63], 0 offset:404 ; 4-byte Folded Spill
	buffer_store_dword v199, off, s[60:63], 0 offset:408 ; 4-byte Folded Spill
	v_mov_b32_e32 v194, v4
	v_fma_f64 v[20:21], v[2:3], s[10:11], -v[210:211]
	v_add_f64 v[30:31], v[184:185], v[18:19]
	v_fma_f64 v[10:11], v[178:179], s[2:3], v[22:23]
	v_add_f64 v[16:17], v[190:191], v[16:17]
	v_add_f64 v[198:199], v[8:9], v[12:13]
	v_mul_f64 v[12:13], v[194:195], s[16:17]
	v_fma_f64 v[18:19], v[231:232], s[30:31], v[0:1]
	v_mul_f64 v[22:23], v[253:254], s[16:17]
	v_fma_f64 v[184:185], v[243:244], s[30:31], -v[14:15]
	v_add_f64 v[28:29], v[20:21], v[186:187]
	v_fma_f64 v[20:21], v[182:183], s[30:31], v[188:189]
	v_add_f64 v[10:11], v[10:11], v[16:17]
	v_mul_f64 v[186:187], v[46:47], s[52:53]
	v_fma_f64 v[188:189], v[227:228], s[2:3], v[12:13]
	v_add_f64 v[18:19], v[130:131], v[18:19]
	v_mul_f64 v[190:191], v[91:92], s[52:53]
	v_fma_f64 v[192:193], v[241:242], s[2:3], -v[22:23]
	v_add_f64 v[184:185], v[128:129], v[184:185]
	v_mov_b32_e32 v201, v75
	v_mov_b32_e32 v200, v74
	;; [unrolled: 1-line block ×4, first 2 shown]
	v_fma_f64 v[16:17], v[176:177], s[18:19], v[208:209]
	v_add_f64 v[10:11], v[20:21], v[10:11]
	v_fma_f64 v[0:1], v[231:232], s[30:31], -v[0:1]
	v_mul_f64 v[20:21], v[74:75], s[38:39]
	v_fma_f64 v[204:205], v[229:230], s[28:29], v[186:187]
	v_add_f64 v[18:19], v[188:189], v[18:19]
	v_mul_f64 v[188:189], v[24:25], s[38:39]
	v_fma_f64 v[208:209], v[251:252], s[28:29], -v[190:191]
	v_add_f64 v[184:185], v[192:193], v[184:185]
	v_mov_b32_e32 v246, v47
	v_mov_b32_e32 v245, v46
	;; [unrolled: 1-line block ×6, first 2 shown]
	v_fma_f64 v[8:9], v[2:3], s[10:11], v[210:211]
	v_fma_f64 v[12:13], v[227:228], s[2:3], -v[12:13]
	v_add_f64 v[0:1], v[130:131], v[0:1]
	v_mul_f64 v[192:193], v[46:47], s[48:49]
	v_fma_f64 v[210:211], v[225:226], s[18:19], v[20:21]
	v_add_f64 v[18:19], v[204:205], v[18:19]
	v_mul_f64 v[215:216], v[4:5], s[48:49]
	v_fma_f64 v[204:205], v[180:181], s[18:19], -v[188:189]
	v_add_f64 v[184:185], v[208:209], v[184:185]
	v_mov_b32_e32 v202, v253
	v_mov_b32_e32 v203, v254
	;; [unrolled: 1-line block ×6, first 2 shown]
	v_fma_f64 v[186:187], v[229:230], s[28:29], -v[186:187]
	v_add_f64 v[0:1], v[12:13], v[0:1]
	v_mul_f64 v[12:13], v[253:254], s[22:23]
	v_fma_f64 v[208:209], v[223:224], s[34:35], v[192:193]
	v_add_f64 v[18:19], v[210:211], v[18:19]
	v_mul_f64 v[233:234], v[89:90], s[22:23]
	v_fma_f64 v[210:211], v[178:179], s[34:35], -v[215:216]
	v_add_f64 v[184:185], v[204:205], v[184:185]
	buffer_store_dword v28, off, s[60:63], 0 offset:380 ; 4-byte Folded Spill
	s_nop 0
	buffer_store_dword v29, off, s[60:63], 0 offset:384 ; 4-byte Folded Spill
	buffer_store_dword v30, off, s[60:63], 0 offset:388 ; 4-byte Folded Spill
	;; [unrolled: 1-line block ×3, first 2 shown]
	v_mov_b32_e32 v28, v102
	v_mov_b32_e32 v29, v103
	v_fma_f64 v[20:21], v[225:226], s[18:19], -v[20:21]
	v_add_f64 v[0:1], v[186:187], v[0:1]
	v_mul_f64 v[186:187], v[28:29], s[54:55]
	v_fma_f64 v[204:205], v[221:222], s[8:9], v[12:13]
	v_add_f64 v[18:19], v[208:209], v[18:19]
	v_mul_f64 v[235:236], v[32:33], s[54:55]
	v_fma_f64 v[208:209], v[182:183], s[8:9], -v[233:234]
	v_add_f64 v[184:185], v[210:211], v[184:185]
	buffer_store_dword v94, off, s[60:63], 0 offset:460 ; 4-byte Folded Spill
	s_nop 0
	buffer_store_dword v95, off, s[60:63], 0 offset:464 ; 4-byte Folded Spill
	buffer_store_dword v96, off, s[60:63], 0 offset:468 ; 4-byte Folded Spill
	;; [unrolled: 1-line block ×3, first 2 shown]
	v_mov_b32_e32 v95, v33
	v_mov_b32_e32 v94, v32
	;; [unrolled: 1-line block ×4, first 2 shown]
	v_fma_f64 v[192:193], v[223:224], s[34:35], -v[192:193]
	v_add_f64 v[0:1], v[20:21], v[0:1]
	v_mul_f64 v[20:21], v[32:33], s[46:47]
	v_fma_f64 v[210:211], v[219:220], s[10:11], v[186:187]
	v_add_f64 v[18:19], v[204:205], v[18:19]
	v_mul_f64 v[237:238], v[26:27], s[46:47]
	v_fma_f64 v[204:205], v[176:177], s[10:11], -v[235:236]
	v_add_f64 v[184:185], v[208:209], v[184:185]
	v_fma_f64 v[12:13], v[221:222], s[8:9], -v[12:13]
	v_add_f64 v[0:1], v[192:193], v[0:1]
	v_add_f64 v[10:11], v[16:17], v[10:11]
	v_fma_f64 v[16:17], v[213:214], s[20:21], v[20:21]
	v_add_f64 v[18:19], v[210:211], v[18:19]
	v_fma_f64 v[14:15], v[243:244], s[30:31], v[14:15]
	v_fma_f64 v[192:193], v[2:3], s[20:21], -v[237:238]
	v_add_f64 v[184:185], v[204:205], v[184:185]
	buffer_load_dword v98, off, s[60:63], 0 offset:476 ; 4-byte Folded Reload
	buffer_load_dword v99, off, s[60:63], 0 offset:480 ; 4-byte Folded Reload
	;; [unrolled: 1-line block ×4, first 2 shown]
	v_add_f64 v[0:1], v[12:13], v[0:1]
	v_add_f64 v[196:197], v[8:9], v[10:11]
	buffer_store_dword v196, off, s[60:63], 0 offset:428 ; 4-byte Folded Spill
	s_nop 0
	buffer_store_dword v197, off, s[60:63], 0 offset:432 ; 4-byte Folded Spill
	buffer_store_dword v198, off, s[60:63], 0 offset:436 ; 4-byte Folded Spill
	;; [unrolled: 1-line block ×3, first 2 shown]
	v_add_f64 v[12:13], v[128:129], v[14:15]
	v_add_f64 v[16:17], v[16:17], v[18:19]
	;; [unrolled: 1-line block ×3, first 2 shown]
	buffer_store_dword v14, off, s[60:63], 0 offset:412 ; 4-byte Folded Spill
	s_nop 0
	buffer_store_dword v15, off, s[60:63], 0 offset:416 ; 4-byte Folded Spill
	buffer_store_dword v16, off, s[60:63], 0 offset:420 ; 4-byte Folded Spill
	buffer_store_dword v17, off, s[60:63], 0 offset:424 ; 4-byte Folded Spill
	buffer_store_dword v200, off, s[60:63], 0 offset:492 ; 4-byte Folded Spill
	s_nop 0
	buffer_store_dword v201, off, s[60:63], 0 offset:496 ; 4-byte Folded Spill
	v_mul_f64 v[10:11], v[239:240], s[48:49]
	v_fma_f64 v[186:187], v[219:220], s[10:11], -v[186:187]
	v_fma_f64 v[8:9], v[241:242], s[2:3], v[22:23]
	v_fma_f64 v[14:15], v[213:214], s[20:21], -v[20:21]
	v_mul_f64 v[18:19], v[194:195], s[24:25]
	v_mov_b32_e32 v207, v92
	v_mov_b32_e32 v206, v91
	;; [unrolled: 1-line block ×3, first 2 shown]
	v_fma_f64 v[20:21], v[231:232], s[34:35], v[10:11]
	s_mov_b32 s51, 0x3fc7851a
	s_mov_b32 s50, s16
	v_mov_b32_e32 v92, v246
	v_add_f64 v[0:1], v[186:187], v[0:1]
	v_fma_f64 v[16:17], v[251:252], s[28:29], v[190:191]
	v_add_f64 v[8:9], v[8:9], v[12:13]
	v_mul_f64 v[184:185], v[91:92], s[50:51]
	v_fma_f64 v[186:187], v[227:228], s[10:11], v[18:19]
	v_add_f64 v[20:21], v[130:131], v[20:21]
	v_fma_f64 v[12:13], v[180:181], s[18:19], v[188:189]
	v_fma_f64 v[188:189], v[178:179], s[34:35], v[215:216]
	v_mul_f64 v[190:191], v[202:203], s[24:25]
	v_mul_f64 v[215:216], v[74:75], s[52:53]
	v_add_f64 v[8:9], v[16:17], v[8:9]
	v_fma_f64 v[16:17], v[2:3], s[20:21], v[237:238]
	v_fma_f64 v[237:238], v[229:230], s[2:3], v[184:185]
	v_add_f64 v[20:21], v[186:187], v[20:21]
	v_mul_f64 v[186:187], v[206:207], s[50:51]
	v_mul_f64 v[245:246], v[46:47], s[46:47]
	v_mov_b32_e32 v218, v47
	v_fma_f64 v[247:248], v[225:226], s[28:29], v[215:216]
	v_add_f64 v[8:9], v[12:13], v[8:9]
	v_fma_f64 v[12:13], v[182:183], s[8:9], v[233:234]
	v_fma_f64 v[233:234], v[241:242], s[10:11], -v[190:191]
	v_add_f64 v[20:21], v[237:238], v[20:21]
	v_mov_b32_e32 v217, v46
	v_mov_b32_e32 v47, v25
	;; [unrolled: 1-line block ×3, first 2 shown]
	v_fma_f64 v[237:238], v[251:252], s[2:3], -v[186:187]
	v_add_f64 v[8:9], v[188:189], v[8:9]
	v_fma_f64 v[188:189], v[176:177], s[10:11], v[235:236]
	v_mul_f64 v[235:236], v[24:25], s[52:53]
	v_fma_f64 v[24:25], v[223:224], s[20:21], v[245:246]
	v_add_f64 v[20:21], v[247:248], v[20:21]
	v_fma_f64 v[10:11], v[231:232], s[34:35], -v[10:11]
	v_mov_b32_e32 v97, v27
	v_mov_b32_e32 v96, v26
	v_add_f64 v[8:9], v[12:13], v[8:9]
	v_mul_f64 v[12:13], v[4:5], s[46:47]
	v_fma_f64 v[26:27], v[180:181], s[28:29], -v[235:236]
	v_fma_f64 v[18:19], v[227:228], s[10:11], -v[18:19]
	v_add_f64 v[20:21], v[24:25], v[20:21]
	v_add_f64 v[10:11], v[130:131], v[10:11]
	v_mov_b32_e32 v205, v29
	v_mov_b32_e32 v204, v28
	v_mul_f64 v[24:25], v[89:90], s[36:37]
	v_mul_f64 v[30:31], v[32:33], s[22:23]
	v_fma_f64 v[184:185], v[229:230], s[2:3], -v[184:185]
	v_add_f64 v[8:9], v[188:189], v[8:9]
	v_add_f64 v[198:199], v[14:15], v[0:1]
	;; [unrolled: 1-line block ×3, first 2 shown]
	v_fma_f64 v[0:1], v[223:224], s[20:21], -v[245:246]
	v_fma_f64 v[190:191], v[241:242], s[10:11], v[190:191]
	v_fma_f64 v[18:19], v[182:183], s[18:19], -v[24:25]
	v_mov_b32_e32 v250, v75
	v_mov_b32_e32 v249, v74
	v_add_f64 v[196:197], v[16:17], v[8:9]
	v_mul_f64 v[16:17], v[239:240], s[44:45]
	v_add_f64 v[184:185], v[184:185], v[10:11]
	buffer_store_dword v72, off, s[60:63], 0 offset:284 ; 4-byte Folded Spill
	buffer_store_dword v73, off, s[60:63], 0 offset:276 ; 4-byte Folded Spill
	v_mov_b32_e32 v75, v63
	v_mov_b32_e32 v209, v33
	v_mov_b32_e32 v74, v62
	v_mov_b32_e32 v73, v61
	v_mov_b32_e32 v72, v60
	v_mov_b32_e32 v63, v37
	v_mov_b32_e32 v208, v32
	v_mov_b32_e32 v62, v36
	v_mov_b32_e32 v61, v35
	v_mul_f64 v[22:23], v[200:201], s[48:49]
	v_mov_b32_e32 v60, v34
	v_mov_b32_e32 v211, v90
	;; [unrolled: 1-line block ×5, first 2 shown]
	v_mul_f64 v[188:189], v[96:97], s[22:23]
	v_fma_f64 v[24:25], v[182:183], s[18:19], v[24:25]
	v_fma_f64 v[192:193], v[243:244], s[34:35], -v[22:23]
	v_fma_f64 v[22:23], v[243:244], s[34:35], v[22:23]
	v_mov_b32_e32 v8, v68
	v_mov_b32_e32 v9, v69
	;; [unrolled: 1-line block ×6, first 2 shown]
	v_add_f64 v[192:193], v[128:129], v[192:193]
	v_add_f64 v[22:23], v[128:129], v[22:23]
	v_mov_b32_e32 v69, v43
	v_mov_b32_e32 v68, v42
	v_fma_f64 v[44:45], v[231:232], s[20:21], -v[16:17]
	v_add_f64 v[134:135], v[130:131], v[134:135]
	v_add_f64 v[132:133], v[128:129], v[132:133]
	v_mul_f64 v[42:43], v[204:205], s[42:43]
	v_add_f64 v[192:193], v[233:234], v[192:193]
	v_mul_f64 v[233:234], v[253:254], s[36:37]
	;; [unrolled: 2-line block ×3, first 2 shown]
	v_add_f64 v[134:135], v[138:139], v[134:135]
	v_add_f64 v[132:133], v[136:137], v[132:133]
	;; [unrolled: 1-line block ×3, first 2 shown]
	v_mul_f64 v[237:238], v[28:29], s[40:41]
	v_fma_f64 v[247:248], v[221:222], s[18:19], v[233:234]
	v_fma_f64 v[28:29], v[178:179], s[20:21], -v[12:13]
	v_fma_f64 v[36:37], v[225:226], s[2:3], v[190:191]
	v_fma_f64 v[12:13], v[178:179], s[20:21], v[12:13]
	v_add_f64 v[132:133], v[140:141], v[132:133]
	v_mul_f64 v[140:141], v[210:211], s[24:25]
	v_add_f64 v[26:27], v[26:27], v[192:193]
	v_fma_f64 v[192:193], v[219:220], s[30:31], v[237:238]
	v_add_f64 v[20:21], v[247:248], v[20:21]
	v_mul_f64 v[247:248], v[94:95], s[40:41]
	v_add_f64 v[132:133], v[144:145], v[132:133]
	v_add_f64 v[26:27], v[28:29], v[26:27]
	v_fma_f64 v[28:29], v[213:214], s[8:9], v[30:31]
	v_add_f64 v[20:21], v[192:193], v[20:21]
	v_fma_f64 v[192:193], v[225:226], s[28:29], -v[215:216]
	v_fma_f64 v[215:216], v[176:177], s[30:31], -v[247:248]
	v_add_f64 v[18:19], v[18:19], v[26:27]
	v_fma_f64 v[26:27], v[2:3], s[8:9], -v[188:189]
	v_add_f64 v[14:15], v[28:29], v[20:21]
	v_add_f64 v[20:21], v[192:193], v[184:185]
	v_fma_f64 v[28:29], v[213:214], s[8:9], -v[30:31]
	v_fma_f64 v[30:31], v[221:222], s[18:19], -v[233:234]
	v_mul_f64 v[184:185], v[194:195], s[40:41]
	v_fma_f64 v[192:193], v[231:232], s[20:21], v[16:17]
	v_add_f64 v[18:19], v[215:216], v[18:19]
	v_mul_f64 v[215:216], v[200:201], s[44:45]
	v_mul_f64 v[233:234], v[91:92], s[24:25]
	v_add_f64 v[0:1], v[0:1], v[20:21]
	v_fma_f64 v[20:21], v[219:220], s[30:31], -v[237:238]
	v_mov_b32_e32 v93, v92
	v_fma_f64 v[237:238], v[227:228], s[30:31], v[184:185]
	v_add_f64 v[192:193], v[130:131], v[192:193]
	v_mov_b32_e32 v92, v91
	v_fma_f64 v[245:246], v[243:244], s[20:21], -v[215:216]
	v_fma_f64 v[32:33], v[229:230], s[10:11], v[233:234]
	v_add_f64 v[0:1], v[30:31], v[0:1]
	v_fma_f64 v[30:31], v[251:252], s[2:3], v[186:187]
	v_mul_f64 v[186:187], v[202:203], s[40:41]
	v_mov_b32_e32 v91, v83
	v_add_f64 v[34:35], v[237:238], v[192:193]
	v_fma_f64 v[192:193], v[180:181], s[28:29], v[235:236]
	v_mul_f64 v[235:236], v[206:207], s[24:25]
	v_add_f64 v[245:246], v[128:129], v[245:246]
	v_mov_b32_e32 v90, v82
	v_mov_b32_e32 v89, v81
	v_fma_f64 v[237:238], v[241:242], s[30:31], -v[186:187]
	v_mov_b32_e32 v88, v80
	v_mov_b32_e32 v83, v79
	;; [unrolled: 1-line block ×10, first 2 shown]
	v_add_f64 v[22:23], v[30:31], v[22:23]
	v_mul_f64 v[30:31], v[217:218], s[56:57]
	v_add_f64 v[32:33], v[32:33], v[34:35]
	v_mul_f64 v[34:35], v[46:47], s[16:17]
	v_mov_b32_e32 v66, v40
	v_mov_b32_e32 v65, v39
	;; [unrolled: 1-line block ×3, first 2 shown]
	v_fma_f64 v[38:39], v[251:252], s[10:11], -v[235:236]
	v_add_f64 v[237:238], v[237:238], v[245:246]
	v_add_f64 v[22:23], v[192:193], v[22:23]
	v_mul_f64 v[192:193], v[253:254], s[52:53]
	v_fma_f64 v[245:246], v[223:224], s[8:9], v[30:31]
	v_add_f64 v[32:33], v[36:37], v[32:33]
	v_mul_f64 v[36:37], v[102:103], s[56:57]
	v_fma_f64 v[40:41], v[180:181], s[2:3], -v[34:35]
	v_add_f64 v[0:1], v[20:21], v[0:1]
	v_add_f64 v[38:39], v[38:39], v[237:238]
	;; [unrolled: 1-line block ×3, first 2 shown]
	v_fma_f64 v[22:23], v[221:222], s[28:29], v[192:193]
	v_fma_f64 v[237:238], v[176:177], s[30:31], v[247:248]
	v_add_f64 v[32:33], v[245:246], v[32:33]
	v_mul_f64 v[245:246], v[210:211], s[52:53]
	v_fma_f64 v[247:248], v[178:179], s[8:9], -v[36:37]
	v_mul_f64 v[20:21], v[94:95], s[42:43]
	v_add_f64 v[38:39], v[40:41], v[38:39]
	v_mov_b32_e32 v201, v47
	v_mov_b32_e32 v200, v46
	v_add_f64 v[12:13], v[24:25], v[12:13]
	v_add_f64 v[22:23], v[22:23], v[32:33]
	v_fma_f64 v[32:33], v[182:183], s[28:29], -v[245:246]
	v_fma_f64 v[188:189], v[2:3], s[8:9], v[188:189]
	v_fma_f64 v[46:47], v[176:177], s[34:35], -v[20:21]
	v_add_f64 v[38:39], v[247:248], v[38:39]
	v_fma_f64 v[34:35], v[180:181], s[2:3], v[34:35]
	v_fma_f64 v[4:5], v[221:222], s[28:29], -v[192:193]
	v_add_f64 v[237:238], v[237:238], v[12:13]
	v_add_f64 v[12:13], v[26:27], v[18:19]
	;; [unrolled: 1-line block ×3, first 2 shown]
	v_fma_f64 v[0:1], v[227:228], s[30:31], -v[184:185]
	v_add_f64 v[26:27], v[130:131], v[44:45]
	v_add_f64 v[32:33], v[32:33], v[38:39]
	v_fma_f64 v[38:39], v[243:244], s[20:21], v[215:216]
	v_fma_f64 v[44:45], v[229:230], s[10:11], -v[233:234]
	v_add_f64 v[16:17], v[188:189], v[237:238]
	v_fma_f64 v[184:185], v[225:226], s[2:3], -v[190:191]
	v_mul_f64 v[24:25], v[208:209], s[38:39]
	v_fma_f64 v[40:41], v[219:220], s[34:35], v[42:43]
	v_add_f64 v[0:1], v[0:1], v[26:27]
	v_add_f64 v[32:33], v[46:47], v[32:33]
	v_mul_f64 v[46:47], v[239:240], s[36:37]
	v_fma_f64 v[26:27], v[223:224], s[8:9], -v[30:31]
	v_fma_f64 v[30:31], v[241:242], s[30:31], v[186:187]
	v_add_f64 v[38:39], v[128:129], v[38:39]
	v_mul_f64 v[186:187], v[194:195], s[44:45]
	v_fma_f64 v[42:43], v[219:220], s[34:35], -v[42:43]
	v_add_f64 v[0:1], v[44:45], v[0:1]
	v_fma_f64 v[44:45], v[251:252], s[10:11], v[235:236]
	v_fma_f64 v[188:189], v[231:232], s[18:19], v[46:47]
	;; [unrolled: 1-line block ×3, first 2 shown]
	v_fma_f64 v[24:25], v[213:214], s[18:19], -v[24:25]
	v_add_f64 v[30:31], v[30:31], v[38:39]
	v_mul_f64 v[38:39], v[92:93], s[48:49]
	v_fma_f64 v[190:191], v[227:228], s[20:21], v[186:187]
	v_add_f64 v[0:1], v[184:185], v[0:1]
	v_add_f64 v[22:23], v[40:41], v[22:23]
	;; [unrolled: 1-line block ×3, first 2 shown]
	v_mul_f64 v[40:41], v[96:97], s[38:39]
	buffer_load_dword v195, off, s[60:63], 0 offset:156 ; 4-byte Folded Reload
	buffer_load_dword v184, off, s[60:63], 0 offset:268 ; 4-byte Folded Reload
	v_add_f64 v[30:31], v[44:45], v[30:31]
	v_mul_f64 v[44:45], v[249:250], s[40:41]
	v_fma_f64 v[136:137], v[229:230], s[34:35], v[38:39]
	v_add_f64 v[0:1], v[26:27], v[0:1]
	v_add_f64 v[138:139], v[190:191], v[188:189]
	v_fma_f64 v[26:27], v[178:179], s[8:9], v[36:37]
	v_add_f64 v[36:37], v[142:143], v[134:135]
	buffer_load_dword v191, off, s[60:63], 0 offset:108 ; 4-byte Folded Reload
	buffer_load_dword v192, off, s[60:63], 0 offset:112 ; 4-byte Folded Reload
	;; [unrolled: 1-line block ×4, first 2 shown]
	v_add_f64 v[30:31], v[34:35], v[30:31]
	v_mul_f64 v[34:35], v[217:218], s[26:27]
	v_fma_f64 v[134:135], v[225:226], s[30:31], v[44:45]
	v_add_f64 v[0:1], v[4:5], v[0:1]
	v_add_f64 v[136:137], v[136:137], v[138:139]
	v_fma_f64 v[4:5], v[182:183], s[28:29], v[245:246]
	v_add_f64 v[36:37], v[146:147], v[36:37]
	v_fma_f64 v[46:47], v[231:232], s[18:19], -v[46:47]
	v_add_f64 v[26:27], v[26:27], v[30:31]
	v_mul_f64 v[30:31], v[253:254], s[24:25]
	v_fma_f64 v[138:139], v[223:224], s[28:29], v[34:35]
	v_add_f64 v[0:1], v[42:43], v[0:1]
	v_add_f64 v[134:135], v[134:135], v[136:137]
	;; [unrolled: 1-line block ×4, first 2 shown]
	v_mul_f64 v[146:147], v[202:203], s[44:45]
	v_add_f64 v[26:27], v[4:5], v[26:27]
	v_fma_f64 v[136:137], v[221:222], s[10:11], v[30:31]
	v_mul_f64 v[150:151], v[206:207], s[48:49]
	v_add_f64 v[4:5], v[24:25], v[0:1]
	v_add_f64 v[134:135], v[138:139], v[134:135]
	;; [unrolled: 1-line block ×5, first 2 shown]
	v_fma_f64 v[152:153], v[227:228], s[20:21], -v[186:187]
	v_fma_f64 v[130:131], v[241:242], s[20:21], v[146:147]
	v_fma_f64 v[146:147], v[241:242], s[20:21], -v[146:147]
	v_mul_f64 v[144:145], v[200:201], s[40:41]
	v_add_f64 v[42:43], v[136:137], v[134:135]
	v_mul_f64 v[134:135], v[96:97], s[16:17]
	v_mul_f64 v[136:137], v[94:95], s[22:23]
	buffer_load_dword v94, off, s[60:63], 0 offset:460 ; 4-byte Folded Reload
	buffer_load_dword v95, off, s[60:63], 0 offset:464 ; 4-byte Folded Reload
	;; [unrolled: 1-line block ×6, first 2 shown]
	v_add_f64 v[24:25], v[158:159], v[24:25]
	v_add_f64 v[36:37], v[156:157], v[36:37]
	v_fma_f64 v[38:39], v[229:230], s[34:35], -v[38:39]
	v_add_f64 v[46:47], v[152:153], v[46:47]
	v_mul_f64 v[142:143], v[102:103], s[26:27]
	v_mul_f64 v[132:133], v[204:205], s[22:23]
	v_fma_f64 v[28:29], v[2:3], s[18:19], -v[40:41]
	v_fma_f64 v[0:1], v[2:3], s[18:19], v[40:41]
	v_add_f64 v[24:25], v[162:163], v[24:25]
	v_add_f64 v[36:37], v[160:161], v[36:37]
	buffer_load_dword v186, off, s[60:63], 0 offset:92 ; 4-byte Folded Reload
	buffer_load_dword v187, off, s[60:63], 0 offset:96 ; 4-byte Folded Reload
	;; [unrolled: 1-line block ×4, first 2 shown]
	v_add_f64 v[38:39], v[38:39], v[46:47]
	v_fma_f64 v[46:47], v[180:181], s[30:31], v[144:145]
	v_fma_f64 v[40:41], v[219:220], s[8:9], v[132:133]
	buffer_load_dword v229, off, s[60:63], 0 offset:236 ; 4-byte Folded Reload
	buffer_load_dword v230, off, s[60:63], 0 offset:240 ; 4-byte Folded Reload
	buffer_load_dword v231, off, s[60:63], 0 offset:244 ; 4-byte Folded Reload
	buffer_load_dword v232, off, s[60:63], 0 offset:248 ; 4-byte Folded Reload
	v_fma_f64 v[44:45], v[225:226], s[30:31], -v[44:45]
	v_add_f64 v[24:25], v[166:167], v[24:25]
	v_add_f64 v[36:37], v[164:165], v[36:37]
	buffer_load_dword v225, off, s[60:63], 0 offset:220 ; 4-byte Folded Reload
	buffer_load_dword v226, off, s[60:63], 0 offset:224 ; 4-byte Folded Reload
	;; [unrolled: 1-line block ×4, first 2 shown]
	v_fma_f64 v[34:35], v[223:224], s[28:29], -v[34:35]
	v_fma_f64 v[30:31], v[221:222], s[10:11], -v[30:31]
	v_fma_f64 v[20:21], v[176:177], s[34:35], v[20:21]
	v_add_f64 v[22:23], v[247:248], v[22:23]
	v_add_f64 v[38:39], v[44:45], v[38:39]
	;; [unrolled: 1-line block ×4, first 2 shown]
	v_fma_f64 v[44:45], v[178:179], s[28:29], v[142:143]
	v_add_f64 v[20:21], v[20:21], v[26:27]
	v_mul_f64 v[26:27], v[208:209], s[16:17]
	v_add_f64 v[34:35], v[34:35], v[38:39]
	v_add_f64 v[24:25], v[174:175], v[24:25]
	v_add_f64 v[36:37], v[172:173], v[36:37]
	v_fma_f64 v[38:39], v[182:183], s[10:11], v[140:141]
	v_add_f64 v[30:31], v[30:31], v[34:35]
	v_add_f64 v[24:25], v[58:59], v[24:25]
	;; [unrolled: 1-line block ×3, first 2 shown]
	buffer_load_dword v56, off, s[60:63], 0 offset:164 ; 4-byte Folded Reload
	buffer_load_dword v221, off, s[60:63], 0 offset:204 ; 4-byte Folded Reload
	;; [unrolled: 1-line block ×5, first 2 shown]
	v_fma_f64 v[34:35], v[176:177], s[8:9], v[136:137]
	v_add_f64 v[24:25], v[54:55], v[24:25]
	v_add_f64 v[36:37], v[52:53], v[36:37]
	buffer_load_dword v53, off, s[60:63], 0 offset:180 ; 4-byte Folded Reload
	buffer_load_dword v52, off, s[60:63], 0 offset:172 ; 4-byte Folded Reload
	v_add_f64 v[24:25], v[50:51], v[24:25]
	v_add_f64 v[36:37], v[48:49], v[36:37]
	s_waitcnt vmcnt(19)
	v_mul_f64 v[138:139], v[92:93], s[36:37]
	v_fma_f64 v[148:149], v[243:244], s[18:19], v[138:139]
	v_fma_f64 v[138:139], v[243:244], s[18:19], -v[138:139]
	v_add_f64 v[148:149], v[128:129], v[148:149]
	v_add_f64 v[128:129], v[128:129], v[138:139]
	v_fma_f64 v[138:139], v[251:252], s[34:35], v[150:151]
	v_add_f64 v[130:131], v[130:131], v[148:149]
	v_fma_f64 v[148:149], v[251:252], s[34:35], -v[150:151]
	v_add_f64 v[128:129], v[146:147], v[128:129]
	v_add_f64 v[130:131], v[138:139], v[130:131]
	v_fma_f64 v[138:139], v[180:181], s[30:31], -v[144:145]
	v_add_f64 v[128:129], v[148:149], v[128:129]
	v_add_f64 v[46:47], v[46:47], v[130:131]
	v_fma_f64 v[130:131], v[178:179], s[28:29], -v[142:143]
	v_add_f64 v[128:129], v[138:139], v[128:129]
	v_add_f64 v[44:45], v[44:45], v[46:47]
	v_fma_f64 v[46:47], v[182:183], s[10:11], -v[140:141]
	v_add_f64 v[128:129], v[130:131], v[128:129]
	v_fma_f64 v[130:131], v[219:220], s[8:9], -v[132:133]
	buffer_load_dword v217, off, s[60:63], 0 offset:188 ; 4-byte Folded Reload
	buffer_load_dword v218, off, s[60:63], 0 offset:192 ; 4-byte Folded Reload
	;; [unrolled: 1-line block ×8, first 2 shown]
	v_add_f64 v[38:39], v[38:39], v[44:45]
	v_fma_f64 v[44:45], v[176:177], s[8:9], -v[136:137]
	v_add_f64 v[46:47], v[46:47], v[128:129]
	v_fma_f64 v[128:129], v[213:214], s[2:3], -v[26:27]
	v_fma_f64 v[136:137], v[2:3], s[2:3], v[134:135]
	v_fma_f64 v[26:27], v[213:214], s[2:3], v[26:27]
	buffer_load_dword v213, off, s[60:63], 0 offset:140 ; 4-byte Folded Reload
	buffer_load_dword v214, off, s[60:63], 0 offset:144 ; 4-byte Folded Reload
	;; [unrolled: 1-line block ×4, first 2 shown]
	v_add_f64 v[30:31], v[130:131], v[30:31]
	v_add_f64 v[34:35], v[34:35], v[38:39]
	;; [unrolled: 1-line block ×3, first 2 shown]
	v_fma_f64 v[40:41], v[2:3], s[2:3], -v[134:135]
	v_add_f64 v[42:43], v[44:45], v[46:47]
	v_add_f64 v[2:3], v[0:1], v[20:21]
	v_mul_lo_u16_e32 v0, 17, v184
	v_add_f64 v[20:21], v[28:29], v[32:33]
	v_add_f64 v[130:131], v[128:129], v[30:31]
	v_add_f64 v[128:129], v[136:137], v[34:35]
	v_add_f64 v[138:139], v[26:27], v[38:39]
	v_add_f64 v[136:137], v[40:41], v[42:43]
	v_mov_b32_e32 v38, v64
	v_mov_b32_e32 v39, v65
	;; [unrolled: 1-line block ×21, first 2 shown]
	v_add_u32_e32 v89, 0x660, v7
	v_mov_b32_e32 v70, v10
	v_mov_b32_e32 v69, v9
	;; [unrolled: 1-line block ×3, first 2 shown]
	s_waitcnt vmcnt(6)
	v_add_f64 v[36:37], v[48:49], v[36:37]
	buffer_load_dword v46, off, s[60:63], 0 offset:76 ; 4-byte Folded Reload
	buffer_load_dword v47, off, s[60:63], 0 offset:80 ; 4-byte Folded Reload
	;; [unrolled: 1-line block ×8, first 2 shown]
	s_waitcnt vmcnt(12)
	v_add_f64 v[24:25], v[50:51], v[24:25]
	s_waitcnt vmcnt(2)
	v_add_f64 v[132:133], v[132:133], v[36:37]
	v_mov_b32_e32 v34, v60
	v_mov_b32_e32 v35, v61
	;; [unrolled: 1-line block ×8, first 2 shown]
	buffer_load_dword v73, off, s[60:63], 0 offset:276 ; 4-byte Folded Reload
	buffer_load_dword v72, off, s[60:63], 0 offset:284 ; 4-byte Folded Reload
	;; [unrolled: 1-line block ×7, first 2 shown]
	s_waitcnt vmcnt(7)
	v_add_f64 v[134:135], v[134:135], v[24:25]
	s_waitcnt vmcnt(0)
	v_lshl_add_u32 v0, v0, 4, v1
	ds_write_b128 v0, v[132:135]
	ds_write_b128 v0, v[128:131] offset:16
	ds_write_b128 v0, v[2:5] offset:32
	;; [unrolled: 1-line block ×4, first 2 shown]
	buffer_load_dword v1, off, s[60:63], 0 offset:428 ; 4-byte Folded Reload
	buffer_load_dword v2, off, s[60:63], 0 offset:432 ; 4-byte Folded Reload
	buffer_load_dword v3, off, s[60:63], 0 offset:436 ; 4-byte Folded Reload
	buffer_load_dword v4, off, s[60:63], 0 offset:440 ; 4-byte Folded Reload
	s_waitcnt vmcnt(0)
	ds_write_b128 v0, v[1:4] offset:80
	buffer_load_dword v1, off, s[60:63], 0 offset:396 ; 4-byte Folded Reload
	buffer_load_dword v2, off, s[60:63], 0 offset:400 ; 4-byte Folded Reload
	buffer_load_dword v3, off, s[60:63], 0 offset:404 ; 4-byte Folded Reload
	buffer_load_dword v4, off, s[60:63], 0 offset:408 ; 4-byte Folded Reload
	s_waitcnt vmcnt(0)
	ds_write_b128 v0, v[1:4] offset:96
	;; [unrolled: 6-line block ×9, first 2 shown]
	buffer_load_dword v206, off, s[60:63], 0 offset:124 ; 4-byte Folded Reload
	buffer_load_dword v207, off, s[60:63], 0 offset:128 ; 4-byte Folded Reload
	buffer_load_dword v208, off, s[60:63], 0 offset:132 ; 4-byte Folded Reload
	buffer_load_dword v209, off, s[60:63], 0 offset:136 ; 4-byte Folded Reload
	ds_write_b128 v0, v[12:15] offset:224
	ds_write_b128 v0, v[20:23] offset:240
	;; [unrolled: 1-line block ×3, first 2 shown]
.LBB0_13:
	s_or_b64 exec, exec, s[0:1]
	s_waitcnt vmcnt(0) lgkmcnt(0)
	s_barrier
	ds_read_b128 v[0:3], v6 offset:6528
	ds_read_b128 v[8:11], v6
	ds_read_b128 v[12:15], v6 offset:1632
	ds_read_b128 v[16:19], v6 offset:8160
	;; [unrolled: 1-line block ×4, first 2 shown]
	s_waitcnt lgkmcnt(5)
	v_mul_f64 v[24:25], v[40:41], v[0:1]
	v_mul_f64 v[4:5], v[40:41], v[2:3]
	ds_read_b128 v[132:135], v6 offset:3264
	ds_read_b128 v[136:139], v6 offset:4896
	s_waitcnt lgkmcnt(3)
	v_mul_f64 v[26:27], v[36:37], v[22:23]
	ds_read_b128 v[140:143], v6 offset:9792
	ds_read_b128 v[144:147], v6 offset:11424
	;; [unrolled: 1-line block ×4, first 2 shown]
	v_mul_f64 v[28:29], v[48:49], v[16:17]
	s_waitcnt lgkmcnt(6)
	v_mul_f64 v[30:31], v[44:45], v[130:131]
	v_fma_f64 v[2:3], v[38:39], v[2:3], -v[24:25]
	v_mul_f64 v[24:25], v[48:49], v[18:19]
	v_fma_f64 v[4:5], v[38:39], v[0:1], v[4:5]
	v_mul_f64 v[0:1], v[36:37], v[20:21]
	v_fma_f64 v[20:21], v[34:35], v[20:21], v[26:27]
	s_waitcnt lgkmcnt(3)
	v_mul_f64 v[32:33], v[193:194], v[142:143]
	v_mul_f64 v[26:27], v[44:45], v[128:129]
	v_fma_f64 v[28:29], v[46:47], v[18:19], -v[28:29]
	s_waitcnt lgkmcnt(1)
	v_mul_f64 v[18:19], v[188:189], v[148:149]
	v_fma_f64 v[24:25], v[46:47], v[16:17], v[24:25]
	v_mul_f64 v[16:17], v[188:189], v[150:151]
	v_fma_f64 v[22:23], v[34:35], v[22:23], -v[0:1]
	v_mul_f64 v[0:1], v[193:194], v[140:141]
	v_fma_f64 v[34:35], v[191:192], v[140:141], v[32:33]
	v_mul_f64 v[32:33], v[215:216], v[144:145]
	v_add_f64 v[36:37], v[4:5], v[20:21]
	v_fma_f64 v[30:31], v[42:43], v[128:129], v[30:31]
	v_fma_f64 v[26:27], v[42:43], v[130:131], -v[26:27]
	v_fma_f64 v[40:41], v[186:187], v[148:149], v[16:17]
	s_waitcnt lgkmcnt(0)
	v_mul_f64 v[16:17], v[208:209], v[154:155]
	v_fma_f64 v[38:39], v[191:192], v[142:143], -v[0:1]
	v_mul_f64 v[0:1], v[215:216], v[146:147]
	v_fma_f64 v[44:45], v[186:187], v[150:151], -v[18:19]
	v_add_f64 v[18:19], v[8:9], v[4:5]
	v_fma_f64 v[48:49], v[213:214], v[146:147], -v[32:33]
	v_fma_f64 v[32:33], v[36:37], -0.5, v[8:9]
	v_add_f64 v[36:37], v[2:3], -v[22:23]
	v_fma_f64 v[50:51], v[206:207], v[152:153], v[16:17]
	v_add_f64 v[16:17], v[2:3], v[22:23]
	v_add_f64 v[2:3], v[10:11], v[2:3]
	v_mul_f64 v[42:43], v[208:209], v[152:153]
	v_fma_f64 v[46:47], v[213:214], v[144:145], v[0:1]
	v_add_f64 v[0:1], v[18:19], v[20:21]
	v_add_f64 v[18:19], v[24:25], v[30:31]
	v_add_f64 v[4:5], v[4:5], -v[20:21]
	v_add_f64 v[20:21], v[28:29], v[26:27]
	v_fma_f64 v[128:129], v[16:17], -0.5, v[10:11]
	v_add_f64 v[2:3], v[2:3], v[22:23]
	v_add_f64 v[22:23], v[12:13], v[24:25]
	s_mov_b32 s2, 0xe8584caa
	s_mov_b32 s3, 0xbfebb67a
	;; [unrolled: 1-line block ×4, first 2 shown]
	v_fma_f64 v[42:43], v[206:207], v[154:155], -v[42:43]
	v_fma_f64 v[8:9], v[36:37], s[2:3], v[32:33]
	v_fma_f64 v[16:17], v[36:37], s[0:1], v[32:33]
	v_fma_f64 v[32:33], v[18:19], -0.5, v[12:13]
	v_add_f64 v[36:37], v[28:29], -v[26:27]
	v_fma_f64 v[10:11], v[4:5], s[0:1], v[128:129]
	v_add_f64 v[130:131], v[34:35], v[40:41]
	v_fma_f64 v[18:19], v[4:5], s[2:3], v[128:129]
	v_add_f64 v[4:5], v[14:15], v[28:29]
	v_fma_f64 v[28:29], v[20:21], -0.5, v[14:15]
	v_add_f64 v[128:129], v[24:25], -v[30:31]
	v_add_f64 v[12:13], v[22:23], v[30:31]
	v_add_f64 v[30:31], v[132:133], v[34:35]
	v_fma_f64 v[20:21], v[36:37], s[2:3], v[32:33]
	v_fma_f64 v[130:131], v[130:131], -0.5, v[132:133]
	v_add_f64 v[132:133], v[38:39], -v[44:45]
	v_add_f64 v[14:15], v[4:5], v[26:27]
	v_add_f64 v[4:5], v[38:39], v[44:45]
	v_fma_f64 v[22:23], v[128:129], s[0:1], v[28:29]
	v_fma_f64 v[26:27], v[128:129], s[2:3], v[28:29]
	v_add_f64 v[28:29], v[30:31], v[40:41]
	v_add_f64 v[30:31], v[46:47], v[50:51]
	;; [unrolled: 1-line block ×4, first 2 shown]
	v_fma_f64 v[24:25], v[36:37], s[0:1], v[32:33]
	v_fma_f64 v[32:33], v[132:133], s[2:3], v[130:131]
	;; [unrolled: 1-line block ×3, first 2 shown]
	v_fma_f64 v[4:5], v[4:5], -0.5, v[134:135]
	v_add_f64 v[40:41], v[34:35], -v[40:41]
	v_add_f64 v[130:131], v[136:137], v[46:47]
	v_fma_f64 v[132:133], v[30:31], -0.5, v[136:137]
	v_add_f64 v[134:135], v[48:49], -v[42:43]
	v_add_f64 v[136:137], v[138:139], v[48:49]
	;; [unrolled: 3-line block ×3, first 2 shown]
	v_fma_f64 v[34:35], v[40:41], s[0:1], v[4:5]
	v_fma_f64 v[38:39], v[40:41], s[2:3], v[4:5]
	v_add_f64 v[40:41], v[130:131], v[50:51]
	v_fma_f64 v[44:45], v[134:135], s[2:3], v[132:133]
	v_fma_f64 v[48:49], v[134:135], s[0:1], v[132:133]
	v_add_f64 v[42:43], v[136:137], v[42:43]
	v_fma_f64 v[46:47], v[138:139], s[0:1], v[128:129]
	v_fma_f64 v[50:51], v[138:139], s[2:3], v[128:129]
	s_barrier
	ds_write_b128 v195, v[0:3]
	ds_write_b128 v195, v[8:11] offset:272
	ds_write_b128 v195, v[16:19] offset:544
	ds_write_b128 v56, v[12:15]
	ds_write_b128 v56, v[20:23] offset:272
	ds_write_b128 v56, v[24:27] offset:544
	;; [unrolled: 3-line block ×4, first 2 shown]
	s_waitcnt lgkmcnt(0)
	s_barrier
	ds_read_b128 v[0:3], v6
	ds_read_b128 v[8:11], v6 offset:1632
	ds_read_b128 v[12:15], v6 offset:9792
	;; [unrolled: 1-line block ×11, first 2 shown]
	s_waitcnt lgkmcnt(7)
	v_mul_f64 v[4:5], v[66:67], v[22:23]
	v_mul_f64 v[58:59], v[66:67], v[20:21]
	;; [unrolled: 1-line block ×4, first 2 shown]
	s_waitcnt lgkmcnt(3)
	v_mul_f64 v[130:131], v[70:71], v[38:39]
	v_mul_f64 v[70:71], v[70:71], v[36:37]
	;; [unrolled: 1-line block ×3, first 2 shown]
	s_waitcnt lgkmcnt(1)
	v_mul_f64 v[56:57], v[78:79], v[44:45]
	v_fma_f64 v[4:5], v[64:65], v[20:21], v[4:5]
	v_fma_f64 v[20:21], v[64:65], v[22:23], -v[58:59]
	v_fma_f64 v[12:13], v[60:61], v[12:13], v[128:129]
	v_fma_f64 v[14:15], v[60:61], v[14:15], -v[54:55]
	;; [unrolled: 2-line block ×3, first 2 shown]
	v_mul_f64 v[38:39], v[82:83], v[18:19]
	v_mul_f64 v[54:55], v[78:79], v[46:47]
	;; [unrolled: 1-line block ×4, first 2 shown]
	v_add_f64 v[58:59], v[0:1], -v[12:13]
	v_add_f64 v[62:63], v[2:3], -v[14:15]
	;; [unrolled: 1-line block ×4, first 2 shown]
	v_fma_f64 v[38:39], v[80:81], v[16:17], v[38:39]
	v_fma_f64 v[52:53], v[80:81], v[18:19], -v[52:53]
	v_fma_f64 v[44:45], v[76:77], v[44:45], v[54:55]
	v_fma_f64 v[46:47], v[76:77], v[46:47], -v[56:57]
	v_fma_f64 v[12:13], v[0:1], 2.0, -v[58:59]
	v_fma_f64 v[14:15], v[2:3], 2.0, -v[62:63]
	;; [unrolled: 1-line block ×4, first 2 shown]
	v_mul_f64 v[4:5], v[227:228], v[34:35]
	v_mul_f64 v[16:17], v[227:228], v[32:33]
	;; [unrolled: 1-line block ×4, first 2 shown]
	s_waitcnt lgkmcnt(0)
	v_mul_f64 v[54:55], v[219:220], v[50:51]
	v_mul_f64 v[56:57], v[219:220], v[48:49]
	v_fma_f64 v[28:29], v[84:85], v[28:29], v[132:133]
	v_fma_f64 v[30:31], v[84:85], v[30:31], -v[74:75]
	v_fma_f64 v[4:5], v[225:226], v[32:33], v[4:5]
	v_fma_f64 v[32:33], v[225:226], v[34:35], -v[16:17]
	;; [unrolled: 2-line block ×4, first 2 shown]
	v_add_f64 v[16:17], v[58:59], v[36:37]
	v_add_f64 v[48:49], v[8:9], -v[38:39]
	v_add_f64 v[50:51], v[10:11], -v[52:53]
	;; [unrolled: 1-line block ×9, first 2 shown]
	v_fma_f64 v[42:43], v[8:9], 2.0, -v[48:49]
	v_fma_f64 v[44:45], v[10:11], 2.0, -v[50:51]
	v_fma_f64 v[20:21], v[28:29], 2.0, -v[36:37]
	v_fma_f64 v[22:23], v[30:31], 2.0, -v[38:39]
	v_add_f64 v[0:1], v[12:13], -v[0:1]
	v_add_f64 v[2:3], v[14:15], -v[2:3]
	v_fma_f64 v[46:47], v[24:25], 2.0, -v[52:53]
	v_fma_f64 v[56:57], v[26:27], 2.0, -v[54:55]
	;; [unrolled: 1-line block ×4, first 2 shown]
	v_add_f64 v[20:21], v[42:43], -v[20:21]
	v_add_f64 v[22:23], v[44:45], -v[22:23]
	v_add_f64 v[24:25], v[48:49], v[38:39]
	v_add_f64 v[26:27], v[50:51], -v[36:37]
	v_fma_f64 v[12:13], v[12:13], 2.0, -v[0:1]
	v_fma_f64 v[14:15], v[14:15], 2.0, -v[2:3]
	v_add_f64 v[28:29], v[46:47], -v[4:5]
	v_add_f64 v[30:31], v[56:57], -v[30:31]
	v_add_f64 v[32:33], v[52:53], v[40:41]
	v_add_f64 v[34:35], v[54:55], -v[34:35]
	v_fma_f64 v[8:9], v[58:59], 2.0, -v[16:17]
	v_fma_f64 v[10:11], v[62:63], 2.0, -v[18:19]
	;; [unrolled: 1-line block ×10, first 2 shown]
	s_barrier
	ds_write_b128 v72, v[12:15]
	ds_write_b128 v72, v[8:11] offset:816
	ds_write_b128 v72, v[0:3] offset:1632
	ds_write_b128 v72, v[16:19] offset:2448
	ds_write_b128 v73, v[36:39]
	ds_write_b128 v73, v[40:43] offset:816
	ds_write_b128 v73, v[20:23] offset:1632
	ds_write_b128 v73, v[24:27] offset:2448
	;; [unrolled: 4-line block ×3, first 2 shown]
	s_waitcnt lgkmcnt(0)
	s_barrier
	ds_read_b128 v[0:3], v6
	ds_read_b128 v[8:11], v6 offset:1632
	ds_read_b128 v[12:15], v6 offset:3264
	;; [unrolled: 1-line block ×7, first 2 shown]
	s_waitcnt lgkmcnt(5)
	v_mul_f64 v[4:5], v[106:107], v[14:15]
	v_mul_f64 v[52:53], v[106:107], v[12:13]
	s_waitcnt lgkmcnt(3)
	v_mul_f64 v[54:55], v[100:101], v[22:23]
	v_mul_f64 v[56:57], v[100:101], v[20:21]
	s_waitcnt lgkmcnt(1)
	v_mul_f64 v[58:59], v[96:97], v[30:31]
	ds_read_b128 v[36:39], v6 offset:13056
	ds_read_b128 v[40:43], v6 offset:14688
	ds_read_b128 v[44:47], v6 offset:16320
	ds_read_b128 v[48:51], v6 offset:17952
	v_fma_f64 v[4:5], v[104:105], v[12:13], v[4:5]
	v_fma_f64 v[12:13], v[104:105], v[14:15], -v[52:53]
	v_mul_f64 v[14:15], v[96:97], v[28:29]
	v_fma_f64 v[20:21], v[98:99], v[20:21], v[54:55]
	s_waitcnt lgkmcnt(3)
	v_mul_f64 v[52:53], v[231:232], v[38:39]
	v_mul_f64 v[54:55], v[231:232], v[36:37]
	v_fma_f64 v[22:23], v[98:99], v[22:23], -v[56:57]
	v_fma_f64 v[28:29], v[94:95], v[28:29], v[58:59]
	s_waitcnt lgkmcnt(1)
	v_mul_f64 v[56:57], v[114:115], v[46:47]
	v_mul_f64 v[58:59], v[114:115], v[44:45]
	v_fma_f64 v[14:15], v[94:95], v[30:31], -v[14:15]
	v_mul_f64 v[30:31], v[126:127], v[18:19]
	v_fma_f64 v[36:37], v[229:230], v[36:37], v[52:53]
	v_fma_f64 v[38:39], v[229:230], v[38:39], -v[54:55]
	v_mul_f64 v[52:53], v[126:127], v[16:17]
	v_mul_f64 v[54:55], v[122:123], v[26:27]
	v_fma_f64 v[44:45], v[112:113], v[44:45], v[56:57]
	v_fma_f64 v[46:47], v[112:113], v[46:47], -v[58:59]
	v_mul_f64 v[56:57], v[122:123], v[24:25]
	v_fma_f64 v[30:31], v[124:125], v[16:17], v[30:31]
	v_mul_f64 v[16:17], v[118:119], v[34:35]
	v_mul_f64 v[58:59], v[118:119], v[32:33]
	v_fma_f64 v[52:53], v[124:125], v[18:19], -v[52:53]
	v_fma_f64 v[54:55], v[120:121], v[24:25], v[54:55]
	v_mul_f64 v[18:19], v[110:111], v[42:43]
	v_mul_f64 v[24:25], v[110:111], v[40:41]
	v_fma_f64 v[26:27], v[120:121], v[26:27], -v[56:57]
	v_add_f64 v[56:57], v[20:21], v[36:37]
	v_fma_f64 v[32:33], v[116:117], v[32:33], v[16:17]
	v_fma_f64 v[34:35], v[116:117], v[34:35], -v[58:59]
	s_waitcnt lgkmcnt(0)
	v_mul_f64 v[16:17], v[92:93], v[50:51]
	v_add_f64 v[58:59], v[14:15], v[46:47]
	v_fma_f64 v[40:41], v[108:109], v[40:41], v[18:19]
	v_fma_f64 v[42:43], v[108:109], v[42:43], -v[24:25]
	v_add_f64 v[18:19], v[0:1], v[20:21]
	v_fma_f64 v[0:1], v[56:57], -0.5, v[0:1]
	v_add_f64 v[24:25], v[22:23], -v[38:39]
	v_add_f64 v[56:57], v[28:29], v[44:45]
	v_fma_f64 v[60:61], v[90:91], v[48:49], v[16:17]
	v_fma_f64 v[16:17], v[58:59], -0.5, v[12:13]
	v_add_f64 v[58:59], v[28:29], -v[44:45]
	v_mul_f64 v[48:49], v[92:93], v[48:49]
	v_add_f64 v[62:63], v[18:19], v[36:37]
	v_add_f64 v[18:19], v[22:23], v[38:39]
	v_fma_f64 v[64:65], v[24:25], s[2:3], v[0:1]
	v_fma_f64 v[56:57], v[56:57], -0.5, v[4:5]
	v_add_f64 v[66:67], v[14:15], -v[46:47]
	v_fma_f64 v[68:69], v[24:25], s[0:1], v[0:1]
	v_fma_f64 v[0:1], v[58:59], s[0:1], v[16:17]
	;; [unrolled: 1-line block ×3, first 2 shown]
	v_add_f64 v[4:5], v[4:5], v[28:29]
	v_add_f64 v[22:23], v[2:3], v[22:23]
	v_fma_f64 v[2:3], v[18:19], -0.5, v[2:3]
	v_add_f64 v[18:19], v[20:21], -v[36:37]
	v_fma_f64 v[20:21], v[66:67], s[2:3], v[56:57]
	v_fma_f64 v[24:25], v[66:67], s[0:1], v[56:57]
	v_mul_f64 v[28:29], v[0:1], s[2:3]
	v_mul_f64 v[36:37], v[16:17], s[2:3]
	v_add_f64 v[12:13], v[12:13], v[14:15]
	v_mul_f64 v[0:1], v[0:1], 0.5
	v_add_f64 v[4:5], v[4:5], v[44:45]
	v_fma_f64 v[48:49], v[90:91], v[50:51], -v[48:49]
	v_add_f64 v[22:23], v[22:23], v[38:39]
	v_mul_f64 v[14:15], v[16:17], -0.5
	v_fma_f64 v[28:29], v[20:21], 0.5, v[28:29]
	v_fma_f64 v[36:37], v[24:25], -0.5, v[36:37]
	v_add_f64 v[44:45], v[12:13], v[46:47]
	v_fma_f64 v[56:57], v[20:21], s[0:1], v[0:1]
	v_add_f64 v[0:1], v[62:63], v[4:5]
	v_add_f64 v[50:51], v[54:55], v[40:41]
	v_add_f64 v[20:21], v[62:63], -v[4:5]
	v_add_f64 v[4:5], v[34:35], v[48:49]
	v_fma_f64 v[38:39], v[18:19], s[0:1], v[2:3]
	v_fma_f64 v[46:47], v[18:19], s[2:3], v[2:3]
	;; [unrolled: 1-line block ×3, first 2 shown]
	v_add_f64 v[12:13], v[64:65], v[28:29]
	v_add_f64 v[16:17], v[68:69], v[36:37]
	;; [unrolled: 1-line block ×3, first 2 shown]
	v_add_f64 v[24:25], v[64:65], -v[28:29]
	v_add_f64 v[62:63], v[8:9], v[54:55]
	v_add_f64 v[28:29], v[68:69], -v[36:37]
	v_fma_f64 v[8:9], v[50:51], -0.5, v[8:9]
	v_add_f64 v[36:37], v[26:27], -v[42:43]
	v_add_f64 v[50:51], v[32:33], v[60:61]
	v_add_f64 v[22:23], v[22:23], -v[44:45]
	v_fma_f64 v[4:5], v[4:5], -0.5, v[52:53]
	v_add_f64 v[44:45], v[32:33], -v[60:61]
	v_add_f64 v[64:65], v[10:11], v[26:27]
	v_add_f64 v[26:27], v[26:27], v[42:43]
	v_add_f64 v[68:69], v[34:35], -v[48:49]
	v_fma_f64 v[66:67], v[36:37], s[2:3], v[8:9]
	v_fma_f64 v[50:51], v[50:51], -0.5, v[30:31]
	v_fma_f64 v[70:71], v[36:37], s[0:1], v[8:9]
	v_add_f64 v[30:31], v[30:31], v[32:33]
	v_fma_f64 v[8:9], v[44:45], s[0:1], v[4:5]
	v_fma_f64 v[4:5], v[44:45], s[2:3], v[4:5]
	v_add_f64 v[34:35], v[52:53], v[34:35]
	v_add_f64 v[62:63], v[62:63], v[40:41]
	v_fma_f64 v[10:11], v[26:27], -0.5, v[10:11]
	v_add_f64 v[26:27], v[54:55], -v[40:41]
	v_fma_f64 v[32:33], v[68:69], s[2:3], v[50:51]
	v_fma_f64 v[36:37], v[68:69], s[0:1], v[50:51]
	v_mul_f64 v[40:41], v[8:9], s[2:3]
	v_mul_f64 v[8:9], v[8:9], 0.5
	v_mul_f64 v[44:45], v[4:5], s[2:3]
	v_mul_f64 v[4:5], v[4:5], -0.5
	v_add_f64 v[42:43], v[64:65], v[42:43]
	v_add_f64 v[54:55], v[30:31], v[60:61]
	;; [unrolled: 1-line block ×3, first 2 shown]
	v_fma_f64 v[50:51], v[26:27], s[0:1], v[10:11]
	v_fma_f64 v[60:61], v[32:33], 0.5, v[40:41]
	v_fma_f64 v[72:73], v[32:33], s[0:1], v[8:9]
	v_fma_f64 v[52:53], v[26:27], s[2:3], v[10:11]
	v_fma_f64 v[64:65], v[36:37], -0.5, v[44:45]
	v_fma_f64 v[4:5], v[36:37], s[0:1], v[4:5]
	v_add_f64 v[14:15], v[38:39], v[56:57]
	v_add_f64 v[18:19], v[46:47], v[58:59]
	v_add_f64 v[26:27], v[38:39], -v[56:57]
	v_add_f64 v[30:31], v[46:47], -v[58:59]
	v_add_f64 v[8:9], v[62:63], v[54:55]
	v_add_f64 v[10:11], v[42:43], v[68:69]
	;; [unrolled: 1-line block ×6, first 2 shown]
	v_add_f64 v[40:41], v[62:63], -v[54:55]
	v_add_f64 v[44:45], v[66:67], -v[60:61]
	v_add_f64 v[48:49], v[70:71], -v[64:65]
	v_add_f64 v[42:43], v[42:43], -v[68:69]
	v_add_f64 v[46:47], v[50:51], -v[72:73]
	v_add_f64 v[50:51], v[52:53], -v[4:5]
	ds_write_b128 v212, v[0:3]
	ds_write_b128 v7, v[12:15] offset:3264
	ds_write_b128 v7, v[16:19] offset:6528
	;; [unrolled: 1-line block ×11, first 2 shown]
	s_waitcnt lgkmcnt(0)
	s_barrier
	s_and_b64 exec, exec, vcc
	s_cbranch_execz .LBB0_15
; %bb.14:
	buffer_load_dword v23, off, s[60:63], 0 offset:56 ; 4-byte Folded Reload
	ds_read_b128 v[8:11], v212
	v_mad_u64_u32 v[16:17], s[0:1], s4, v184, 0
	s_mul_i32 s3, s5, 0x480
	s_mul_i32 s2, s4, 0x480
	v_mov_b32_e32 v6, v17
	s_waitcnt vmcnt(0)
	global_load_dwordx4 v[0:3], v23, s[12:13]
	buffer_load_dword v4, off, s[60:63], 0  ; 4-byte Folded Reload
	buffer_load_dword v5, off, s[60:63], 0 offset:4 ; 4-byte Folded Reload
	ds_read_b128 v[12:15], v7 offset:1152
	s_waitcnt vmcnt(2) lgkmcnt(1)
	v_mul_f64 v[18:19], v[10:11], v[2:3]
	v_mul_f64 v[2:3], v[8:9], v[2:3]
	s_waitcnt vmcnt(1)
	v_mov_b32_e32 v20, v4
	s_waitcnt vmcnt(0)
	v_mad_u64_u32 v[4:5], s[0:1], s6, v20, 0
	s_mul_hi_u32 s6, s4, 0x480
	s_add_i32 s3, s6, s3
	v_mad_u64_u32 v[20:21], s[0:1], s7, v20, v[5:6]
	v_fma_f64 v[8:9], v[8:9], v[0:1], v[18:19]
	v_fma_f64 v[0:1], v[0:1], v[10:11], -v[2:3]
	v_mad_u64_u32 v[21:22], s[0:1], s5, v184, v[6:7]
	s_mov_b32 s0, 0x1ac5701b
	s_mov_b32 s1, 0x3f4ac570
	v_mov_b32_e32 v5, v20
	v_lshlrev_b64 v[10:11], 4, v[4:5]
	v_mul_f64 v[2:3], v[8:9], s[0:1]
	v_mul_f64 v[4:5], v[0:1], s[0:1]
	v_mov_b32_e32 v17, v21
	v_mov_b32_e32 v6, s15
	v_lshlrev_b64 v[16:17], 4, v[16:17]
	v_add_co_u32_e32 v0, vcc, s14, v10
	v_addc_co_u32_e32 v1, vcc, v6, v11, vcc
	v_add_co_u32_e32 v8, vcc, v0, v16
	v_addc_co_u32_e32 v9, vcc, v1, v17, vcc
	global_store_dwordx4 v[8:9], v[2:5], off
	global_load_dwordx4 v[2:5], v23, s[12:13] offset:1152
	v_mov_b32_e32 v6, s3
	v_add_co_u32_e32 v16, vcc, s2, v8
	v_addc_co_u32_e32 v17, vcc, v9, v6, vcc
	s_movk_i32 s6, 0x1000
	s_waitcnt vmcnt(0) lgkmcnt(0)
	v_mul_f64 v[10:11], v[14:15], v[4:5]
	v_mul_f64 v[4:5], v[12:13], v[4:5]
	v_fma_f64 v[10:11], v[12:13], v[2:3], v[10:11]
	v_fma_f64 v[4:5], v[2:3], v[14:15], -v[4:5]
	v_mul_f64 v[2:3], v[10:11], s[0:1]
	v_mul_f64 v[4:5], v[4:5], s[0:1]
	global_store_dwordx4 v[16:17], v[2:5], off
	global_load_dwordx4 v[2:5], v23, s[12:13] offset:2304
	ds_read_b128 v[8:11], v7 offset:2304
	ds_read_b128 v[12:15], v7 offset:3456
	s_waitcnt vmcnt(0) lgkmcnt(1)
	v_mul_f64 v[18:19], v[10:11], v[4:5]
	v_mul_f64 v[4:5], v[8:9], v[4:5]
	v_fma_f64 v[8:9], v[8:9], v[2:3], v[18:19]
	v_fma_f64 v[4:5], v[2:3], v[10:11], -v[4:5]
	v_mul_f64 v[2:3], v[8:9], s[0:1]
	v_mul_f64 v[4:5], v[4:5], s[0:1]
	v_add_co_u32_e32 v8, vcc, s2, v16
	v_addc_co_u32_e32 v9, vcc, v17, v6, vcc
	v_mov_b32_e32 v6, s13
	v_add_co_u32_e32 v22, vcc, s12, v23
	global_store_dwordx4 v[8:9], v[2:5], off
	global_load_dwordx4 v[2:5], v23, s[12:13] offset:3456
	v_addc_co_u32_e32 v6, vcc, 0, v6, vcc
	v_add_co_u32_e32 v16, vcc, s6, v22
	v_addc_co_u32_e32 v17, vcc, 0, v6, vcc
	v_add_co_u32_e32 v18, vcc, s2, v8
	s_movk_i32 s6, 0x2000
	s_waitcnt vmcnt(0) lgkmcnt(0)
	v_mul_f64 v[10:11], v[14:15], v[4:5]
	v_mul_f64 v[4:5], v[12:13], v[4:5]
	v_fma_f64 v[10:11], v[12:13], v[2:3], v[10:11]
	v_fma_f64 v[4:5], v[2:3], v[14:15], -v[4:5]
	v_mov_b32_e32 v12, s3
	v_addc_co_u32_e32 v19, vcc, v9, v12, vcc
	v_mul_f64 v[2:3], v[10:11], s[0:1]
	v_mul_f64 v[4:5], v[4:5], s[0:1]
	global_store_dwordx4 v[18:19], v[2:5], off
	global_load_dwordx4 v[2:5], v[16:17], off offset:512
	ds_read_b128 v[8:11], v7 offset:4608
	ds_read_b128 v[12:15], v7 offset:5760
	s_waitcnt vmcnt(0) lgkmcnt(1)
	v_mul_f64 v[20:21], v[10:11], v[4:5]
	v_mul_f64 v[4:5], v[8:9], v[4:5]
	v_fma_f64 v[8:9], v[8:9], v[2:3], v[20:21]
	v_fma_f64 v[4:5], v[2:3], v[10:11], -v[4:5]
	v_mul_f64 v[2:3], v[8:9], s[0:1]
	v_mul_f64 v[4:5], v[4:5], s[0:1]
	v_mov_b32_e32 v9, s3
	v_add_co_u32_e32 v8, vcc, s2, v18
	v_addc_co_u32_e32 v9, vcc, v19, v9, vcc
	v_add_co_u32_e32 v18, vcc, s2, v8
	global_store_dwordx4 v[8:9], v[2:5], off
	global_load_dwordx4 v[2:5], v[16:17], off offset:1664
	s_waitcnt vmcnt(0) lgkmcnt(0)
	v_mul_f64 v[10:11], v[14:15], v[4:5]
	v_mul_f64 v[4:5], v[12:13], v[4:5]
	v_fma_f64 v[10:11], v[12:13], v[2:3], v[10:11]
	v_fma_f64 v[4:5], v[2:3], v[14:15], -v[4:5]
	v_mul_f64 v[2:3], v[10:11], s[0:1]
	v_mul_f64 v[4:5], v[4:5], s[0:1]
	v_mov_b32_e32 v10, s3
	v_addc_co_u32_e32 v19, vcc, v9, v10, vcc
	global_store_dwordx4 v[18:19], v[2:5], off
	global_load_dwordx4 v[2:5], v[16:17], off offset:2816
	ds_read_b128 v[8:11], v7 offset:6912
	ds_read_b128 v[12:15], v7 offset:8064
	s_waitcnt vmcnt(0) lgkmcnt(1)
	v_mul_f64 v[20:21], v[10:11], v[4:5]
	v_mul_f64 v[4:5], v[8:9], v[4:5]
	v_fma_f64 v[8:9], v[8:9], v[2:3], v[20:21]
	v_fma_f64 v[4:5], v[2:3], v[10:11], -v[4:5]
	v_mul_f64 v[2:3], v[8:9], s[0:1]
	v_mul_f64 v[4:5], v[4:5], s[0:1]
	v_mov_b32_e32 v9, s3
	v_add_co_u32_e32 v8, vcc, s2, v18
	v_addc_co_u32_e32 v9, vcc, v19, v9, vcc
	global_store_dwordx4 v[8:9], v[2:5], off
	global_load_dwordx4 v[2:5], v[16:17], off offset:3968
	v_add_co_u32_e32 v16, vcc, s6, v22
	v_addc_co_u32_e32 v17, vcc, 0, v6, vcc
	v_add_co_u32_e32 v18, vcc, s2, v8
	s_movk_i32 s6, 0x3000
	s_waitcnt vmcnt(0) lgkmcnt(0)
	v_mul_f64 v[10:11], v[14:15], v[4:5]
	v_mul_f64 v[4:5], v[12:13], v[4:5]
	v_fma_f64 v[10:11], v[12:13], v[2:3], v[10:11]
	v_fma_f64 v[4:5], v[2:3], v[14:15], -v[4:5]
	v_mov_b32_e32 v12, s3
	v_addc_co_u32_e32 v19, vcc, v9, v12, vcc
	v_mul_f64 v[2:3], v[10:11], s[0:1]
	v_mul_f64 v[4:5], v[4:5], s[0:1]
	global_store_dwordx4 v[18:19], v[2:5], off
	global_load_dwordx4 v[2:5], v[16:17], off offset:1024
	ds_read_b128 v[8:11], v7 offset:9216
	ds_read_b128 v[12:15], v7 offset:10368
	s_waitcnt vmcnt(0) lgkmcnt(1)
	v_mul_f64 v[20:21], v[10:11], v[4:5]
	v_mul_f64 v[4:5], v[8:9], v[4:5]
	v_fma_f64 v[8:9], v[8:9], v[2:3], v[20:21]
	v_fma_f64 v[4:5], v[2:3], v[10:11], -v[4:5]
	v_mul_f64 v[2:3], v[8:9], s[0:1]
	v_mul_f64 v[4:5], v[4:5], s[0:1]
	v_mov_b32_e32 v9, s3
	v_add_co_u32_e32 v8, vcc, s2, v18
	v_addc_co_u32_e32 v9, vcc, v19, v9, vcc
	v_add_co_u32_e32 v18, vcc, s2, v8
	global_store_dwordx4 v[8:9], v[2:5], off
	global_load_dwordx4 v[2:5], v[16:17], off offset:2176
	s_waitcnt vmcnt(0) lgkmcnt(0)
	v_mul_f64 v[10:11], v[14:15], v[4:5]
	v_mul_f64 v[4:5], v[12:13], v[4:5]
	v_fma_f64 v[10:11], v[12:13], v[2:3], v[10:11]
	v_fma_f64 v[4:5], v[2:3], v[14:15], -v[4:5]
	v_mul_f64 v[2:3], v[10:11], s[0:1]
	v_mul_f64 v[4:5], v[4:5], s[0:1]
	v_mov_b32_e32 v10, s3
	v_addc_co_u32_e32 v19, vcc, v9, v10, vcc
	global_store_dwordx4 v[18:19], v[2:5], off
	global_load_dwordx4 v[2:5], v[16:17], off offset:3328
	ds_read_b128 v[8:11], v7 offset:11520
	ds_read_b128 v[12:15], v7 offset:12672
	s_waitcnt vmcnt(0) lgkmcnt(1)
	v_mul_f64 v[16:17], v[10:11], v[4:5]
	v_mul_f64 v[4:5], v[8:9], v[4:5]
	v_fma_f64 v[8:9], v[8:9], v[2:3], v[16:17]
	v_fma_f64 v[4:5], v[2:3], v[10:11], -v[4:5]
	v_add_co_u32_e32 v16, vcc, s6, v22
	v_addc_co_u32_e32 v17, vcc, 0, v6, vcc
	v_mov_b32_e32 v10, s3
	s_movk_i32 s6, 0x4000
	v_mul_f64 v[2:3], v[8:9], s[0:1]
	v_mul_f64 v[4:5], v[4:5], s[0:1]
	v_add_co_u32_e32 v8, vcc, s2, v18
	v_addc_co_u32_e32 v9, vcc, v19, v10, vcc
	v_add_co_u32_e32 v18, vcc, s2, v8
	global_store_dwordx4 v[8:9], v[2:5], off
	global_load_dwordx4 v[2:5], v[16:17], off offset:384
	s_waitcnt vmcnt(0) lgkmcnt(0)
	v_mul_f64 v[10:11], v[14:15], v[4:5]
	v_mul_f64 v[4:5], v[12:13], v[4:5]
	v_fma_f64 v[10:11], v[12:13], v[2:3], v[10:11]
	v_fma_f64 v[4:5], v[2:3], v[14:15], -v[4:5]
	v_mul_f64 v[2:3], v[10:11], s[0:1]
	v_mul_f64 v[4:5], v[4:5], s[0:1]
	v_mov_b32_e32 v10, s3
	v_addc_co_u32_e32 v19, vcc, v9, v10, vcc
	global_store_dwordx4 v[18:19], v[2:5], off
	global_load_dwordx4 v[2:5], v[16:17], off offset:1536
	ds_read_b128 v[8:11], v7 offset:13824
	ds_read_b128 v[12:15], v7 offset:14976
	s_waitcnt vmcnt(0) lgkmcnt(1)
	v_mul_f64 v[20:21], v[10:11], v[4:5]
	v_mul_f64 v[4:5], v[8:9], v[4:5]
	v_fma_f64 v[8:9], v[8:9], v[2:3], v[20:21]
	v_fma_f64 v[4:5], v[2:3], v[10:11], -v[4:5]
	v_mul_f64 v[2:3], v[8:9], s[0:1]
	v_mul_f64 v[4:5], v[4:5], s[0:1]
	v_mov_b32_e32 v9, s3
	v_add_co_u32_e32 v8, vcc, s2, v18
	v_addc_co_u32_e32 v9, vcc, v19, v9, vcc
	v_add_co_u32_e32 v18, vcc, s2, v8
	global_store_dwordx4 v[8:9], v[2:5], off
	global_load_dwordx4 v[2:5], v[16:17], off offset:2688
	s_waitcnt vmcnt(0) lgkmcnt(0)
	v_mul_f64 v[10:11], v[14:15], v[4:5]
	v_mul_f64 v[4:5], v[12:13], v[4:5]
	v_fma_f64 v[10:11], v[12:13], v[2:3], v[10:11]
	v_fma_f64 v[4:5], v[2:3], v[14:15], -v[4:5]
	v_mul_f64 v[2:3], v[10:11], s[0:1]
	v_mul_f64 v[4:5], v[4:5], s[0:1]
	v_mov_b32_e32 v10, s3
	v_addc_co_u32_e32 v19, vcc, v9, v10, vcc
	global_store_dwordx4 v[18:19], v[2:5], off
	global_load_dwordx4 v[2:5], v[16:17], off offset:3840
	ds_read_b128 v[8:11], v7 offset:16128
	ds_read_b128 v[12:15], v7 offset:17280
	s_waitcnt vmcnt(0) lgkmcnt(1)
	v_mul_f64 v[16:17], v[10:11], v[4:5]
	v_mul_f64 v[4:5], v[8:9], v[4:5]
	v_fma_f64 v[8:9], v[8:9], v[2:3], v[16:17]
	v_fma_f64 v[4:5], v[2:3], v[10:11], -v[4:5]
	v_mov_b32_e32 v11, s3
	v_mul_f64 v[2:3], v[8:9], s[0:1]
	v_mul_f64 v[4:5], v[4:5], s[0:1]
	v_add_co_u32_e32 v8, vcc, s6, v22
	v_addc_co_u32_e32 v9, vcc, 0, v6, vcc
	v_add_co_u32_e32 v10, vcc, s2, v18
	v_addc_co_u32_e32 v11, vcc, v19, v11, vcc
	global_store_dwordx4 v[10:11], v[2:5], off
	global_load_dwordx4 v[2:5], v[8:9], off offset:896
	s_waitcnt vmcnt(0) lgkmcnt(0)
	v_mul_f64 v[8:9], v[14:15], v[4:5]
	v_mul_f64 v[4:5], v[12:13], v[4:5]
	v_fma_f64 v[8:9], v[12:13], v[2:3], v[8:9]
	v_fma_f64 v[4:5], v[2:3], v[14:15], -v[4:5]
	v_or_b32_e32 v12, 0x480, v184
	v_lshlrev_b32_e32 v6, 4, v12
	v_mul_f64 v[2:3], v[8:9], s[0:1]
	v_mul_f64 v[4:5], v[4:5], s[0:1]
	v_mov_b32_e32 v9, s3
	v_add_co_u32_e32 v8, vcc, s2, v10
	v_addc_co_u32_e32 v9, vcc, v11, v9, vcc
	global_store_dwordx4 v[8:9], v[2:5], off
	global_load_dwordx4 v[2:5], v6, s[12:13]
	ds_read_b128 v[6:9], v7 offset:18432
	s_waitcnt vmcnt(0) lgkmcnt(0)
	v_mul_f64 v[10:11], v[8:9], v[4:5]
	v_mul_f64 v[4:5], v[6:7], v[4:5]
	v_fma_f64 v[6:7], v[6:7], v[2:3], v[10:11]
	v_fma_f64 v[4:5], v[2:3], v[8:9], -v[4:5]
	v_mad_u64_u32 v[8:9], s[2:3], s4, v12, 0
	v_mov_b32_e32 v2, v9
	v_mad_u64_u32 v[9:10], s[2:3], s5, v12, v[2:3]
	v_mul_f64 v[2:3], v[6:7], s[0:1]
	v_mul_f64 v[4:5], v[4:5], s[0:1]
	v_lshlrev_b64 v[6:7], 4, v[8:9]
	v_add_co_u32_e32 v0, vcc, v0, v6
	v_addc_co_u32_e32 v1, vcc, v1, v7, vcc
	global_store_dwordx4 v[0:1], v[2:5], off
.LBB0_15:
	s_endpgm
	.section	.rodata,"a",@progbits
	.p2align	6, 0x0
	.amdhsa_kernel bluestein_single_back_len1224_dim1_dp_op_CI_CI
		.amdhsa_group_segment_fixed_size 39168
		.amdhsa_private_segment_fixed_size 608
		.amdhsa_kernarg_size 104
		.amdhsa_user_sgpr_count 6
		.amdhsa_user_sgpr_private_segment_buffer 1
		.amdhsa_user_sgpr_dispatch_ptr 0
		.amdhsa_user_sgpr_queue_ptr 0
		.amdhsa_user_sgpr_kernarg_segment_ptr 1
		.amdhsa_user_sgpr_dispatch_id 0
		.amdhsa_user_sgpr_flat_scratch_init 0
		.amdhsa_user_sgpr_private_segment_size 0
		.amdhsa_uses_dynamic_stack 0
		.amdhsa_system_sgpr_private_segment_wavefront_offset 1
		.amdhsa_system_sgpr_workgroup_id_x 1
		.amdhsa_system_sgpr_workgroup_id_y 0
		.amdhsa_system_sgpr_workgroup_id_z 0
		.amdhsa_system_sgpr_workgroup_info 0
		.amdhsa_system_vgpr_workitem_id 0
		.amdhsa_next_free_vgpr 256
		.amdhsa_next_free_sgpr 64
		.amdhsa_reserve_vcc 1
		.amdhsa_reserve_flat_scratch 0
		.amdhsa_float_round_mode_32 0
		.amdhsa_float_round_mode_16_64 0
		.amdhsa_float_denorm_mode_32 3
		.amdhsa_float_denorm_mode_16_64 3
		.amdhsa_dx10_clamp 1
		.amdhsa_ieee_mode 1
		.amdhsa_fp16_overflow 0
		.amdhsa_exception_fp_ieee_invalid_op 0
		.amdhsa_exception_fp_denorm_src 0
		.amdhsa_exception_fp_ieee_div_zero 0
		.amdhsa_exception_fp_ieee_overflow 0
		.amdhsa_exception_fp_ieee_underflow 0
		.amdhsa_exception_fp_ieee_inexact 0
		.amdhsa_exception_int_div_zero 0
	.end_amdhsa_kernel
	.text
.Lfunc_end0:
	.size	bluestein_single_back_len1224_dim1_dp_op_CI_CI, .Lfunc_end0-bluestein_single_back_len1224_dim1_dp_op_CI_CI
                                        ; -- End function
	.section	.AMDGPU.csdata,"",@progbits
; Kernel info:
; codeLenInByte = 29872
; NumSgprs: 68
; NumVgprs: 256
; ScratchSize: 608
; MemoryBound: 0
; FloatMode: 240
; IeeeMode: 1
; LDSByteSize: 39168 bytes/workgroup (compile time only)
; SGPRBlocks: 8
; VGPRBlocks: 63
; NumSGPRsForWavesPerEU: 68
; NumVGPRsForWavesPerEU: 256
; Occupancy: 1
; WaveLimiterHint : 1
; COMPUTE_PGM_RSRC2:SCRATCH_EN: 1
; COMPUTE_PGM_RSRC2:USER_SGPR: 6
; COMPUTE_PGM_RSRC2:TRAP_HANDLER: 0
; COMPUTE_PGM_RSRC2:TGID_X_EN: 1
; COMPUTE_PGM_RSRC2:TGID_Y_EN: 0
; COMPUTE_PGM_RSRC2:TGID_Z_EN: 0
; COMPUTE_PGM_RSRC2:TIDIG_COMP_CNT: 0
	.type	__hip_cuid_ace80ee32f5cd940,@object ; @__hip_cuid_ace80ee32f5cd940
	.section	.bss,"aw",@nobits
	.globl	__hip_cuid_ace80ee32f5cd940
__hip_cuid_ace80ee32f5cd940:
	.byte	0                               ; 0x0
	.size	__hip_cuid_ace80ee32f5cd940, 1

	.ident	"AMD clang version 19.0.0git (https://github.com/RadeonOpenCompute/llvm-project roc-6.4.0 25133 c7fe45cf4b819c5991fe208aaa96edf142730f1d)"
	.section	".note.GNU-stack","",@progbits
	.addrsig
	.addrsig_sym __hip_cuid_ace80ee32f5cd940
	.amdgpu_metadata
---
amdhsa.kernels:
  - .args:
      - .actual_access:  read_only
        .address_space:  global
        .offset:         0
        .size:           8
        .value_kind:     global_buffer
      - .actual_access:  read_only
        .address_space:  global
        .offset:         8
        .size:           8
        .value_kind:     global_buffer
      - .actual_access:  read_only
        .address_space:  global
        .offset:         16
        .size:           8
        .value_kind:     global_buffer
      - .actual_access:  read_only
        .address_space:  global
        .offset:         24
        .size:           8
        .value_kind:     global_buffer
      - .actual_access:  read_only
        .address_space:  global
        .offset:         32
        .size:           8
        .value_kind:     global_buffer
      - .offset:         40
        .size:           8
        .value_kind:     by_value
      - .address_space:  global
        .offset:         48
        .size:           8
        .value_kind:     global_buffer
      - .address_space:  global
        .offset:         56
        .size:           8
        .value_kind:     global_buffer
      - .address_space:  global
        .offset:         64
        .size:           8
        .value_kind:     global_buffer
      - .address_space:  global
        .offset:         72
        .size:           8
        .value_kind:     global_buffer
      - .offset:         80
        .size:           4
        .value_kind:     by_value
      - .address_space:  global
        .offset:         88
        .size:           8
        .value_kind:     global_buffer
      - .address_space:  global
        .offset:         96
        .size:           8
        .value_kind:     global_buffer
    .group_segment_fixed_size: 39168
    .kernarg_segment_align: 8
    .kernarg_segment_size: 104
    .language:       OpenCL C
    .language_version:
      - 2
      - 0
    .max_flat_workgroup_size: 204
    .name:           bluestein_single_back_len1224_dim1_dp_op_CI_CI
    .private_segment_fixed_size: 608
    .sgpr_count:     68
    .sgpr_spill_count: 0
    .symbol:         bluestein_single_back_len1224_dim1_dp_op_CI_CI.kd
    .uniform_work_group_size: 1
    .uses_dynamic_stack: false
    .vgpr_count:     256
    .vgpr_spill_count: 221
    .wavefront_size: 64
amdhsa.target:   amdgcn-amd-amdhsa--gfx906
amdhsa.version:
  - 1
  - 2
...

	.end_amdgpu_metadata
